;; amdgpu-corpus repo=ROCm/rocFFT kind=compiled arch=gfx950 opt=O3
	.text
	.amdgcn_target "amdgcn-amd-amdhsa--gfx950"
	.amdhsa_code_object_version 6
	.protected	fft_rtc_fwd_len216_factors_9_4_3_2_wgs_252_tpt_18_dim3_sp_ip_CI_sbcc_twdbase8_3step_dirReg_intrinsicReadWrite ; -- Begin function fft_rtc_fwd_len216_factors_9_4_3_2_wgs_252_tpt_18_dim3_sp_ip_CI_sbcc_twdbase8_3step_dirReg_intrinsicReadWrite
	.globl	fft_rtc_fwd_len216_factors_9_4_3_2_wgs_252_tpt_18_dim3_sp_ip_CI_sbcc_twdbase8_3step_dirReg_intrinsicReadWrite
	.p2align	8
	.type	fft_rtc_fwd_len216_factors_9_4_3_2_wgs_252_tpt_18_dim3_sp_ip_CI_sbcc_twdbase8_3step_dirReg_intrinsicReadWrite,@function
fft_rtc_fwd_len216_factors_9_4_3_2_wgs_252_tpt_18_dim3_sp_ip_CI_sbcc_twdbase8_3step_dirReg_intrinsicReadWrite: ; @fft_rtc_fwd_len216_factors_9_4_3_2_wgs_252_tpt_18_dim3_sp_ip_CI_sbcc_twdbase8_3step_dirReg_intrinsicReadWrite
; %bb.0:
	s_load_dwordx4 s[4:7], s[0:1], 0x10
	s_mov_b32 s3, 0
	s_waitcnt lgkmcnt(0)
	s_load_dwordx2 s[12:13], s[4:5], 0x8
	s_waitcnt lgkmcnt(0)
	s_add_u32 s8, s12, -1
	s_addc_u32 s9, s13, -1
	s_add_u32 s10, 0, 0x49240800
	s_addc_u32 s11, 0, 50
	s_mul_hi_u32 s15, s10, -14
	s_add_i32 s11, s11, 0x12492460
	s_sub_i32 s15, s15, s10
	s_mul_i32 s18, s11, -14
	s_mul_i32 s14, s10, -14
	s_add_i32 s15, s15, s18
	s_mul_hi_u32 s16, s11, s14
	s_mul_i32 s17, s11, s14
	s_mul_i32 s19, s10, s15
	s_mul_hi_u32 s14, s10, s14
	s_mul_hi_u32 s18, s10, s15
	s_add_u32 s14, s14, s19
	s_addc_u32 s18, 0, s18
	s_add_u32 s14, s14, s17
	s_mul_hi_u32 s19, s11, s15
	s_addc_u32 s14, s18, s16
	s_addc_u32 s16, s19, 0
	s_mul_i32 s15, s11, s15
	s_add_u32 s14, s14, s15
	v_mov_b32_e32 v1, s14
	s_addc_u32 s15, 0, s16
	v_add_co_u32_e32 v1, vcc, s10, v1
	s_cmp_lg_u64 vcc, 0
	s_addc_u32 s10, s11, s15
	v_readfirstlane_b32 s15, v1
	s_mul_i32 s14, s8, s10
	s_mul_hi_u32 s16, s8, s15
	s_mul_hi_u32 s11, s8, s10
	s_add_u32 s14, s16, s14
	s_addc_u32 s11, 0, s11
	s_mul_hi_u32 s17, s9, s15
	s_mul_i32 s15, s9, s15
	s_add_u32 s14, s14, s15
	s_mul_hi_u32 s16, s9, s10
	s_addc_u32 s11, s11, s17
	s_addc_u32 s14, s16, 0
	s_mul_i32 s10, s9, s10
	s_add_u32 s10, s11, s10
	s_addc_u32 s11, 0, s14
	s_add_u32 s14, s10, 1
	s_addc_u32 s15, s11, 0
	s_add_u32 s16, s10, 2
	s_mul_i32 s18, s11, 14
	s_mul_hi_u32 s19, s10, 14
	s_addc_u32 s17, s11, 0
	s_add_i32 s19, s19, s18
	s_mul_i32 s18, s10, 14
	v_mov_b32_e32 v1, s18
	v_sub_co_u32_e32 v1, vcc, s8, v1
	s_cmp_lg_u64 vcc, 0
	s_subb_u32 s8, s9, s19
	v_subrev_co_u32_e32 v2, vcc, 14, v1
	s_cmp_lg_u64 vcc, 0
	s_subb_u32 s9, s8, 0
	v_readfirstlane_b32 s18, v2
	s_cmp_gt_u32 s18, 13
	s_cselect_b32 s18, -1, 0
	s_cmp_eq_u32 s9, 0
	s_cselect_b32 s9, s18, -1
	s_cmp_lg_u32 s9, 0
	s_cselect_b32 s9, s16, s14
	s_cselect_b32 s14, s17, s15
	v_readfirstlane_b32 s15, v1
	s_cmp_gt_u32 s15, 13
	s_cselect_b32 s15, -1, 0
	s_cmp_eq_u32 s8, 0
	s_cselect_b32 s8, s15, -1
	s_cmp_lg_u32 s8, 0
	s_cselect_b32 s9, s9, s10
	s_cselect_b32 s8, s14, s11
	s_add_u32 s14, s9, 1
	s_addc_u32 s15, s8, 0
	v_mov_b64_e32 v[2:3], s[14:15]
	v_cmp_lt_u64_e32 vcc, s[2:3], v[2:3]
	s_mov_b64 s[18:19], 0
	s_cbranch_vccnz .LBB0_2
; %bb.1:
	v_cvt_f32_u32_e32 v1, s14
	s_sub_i32 s8, 0, s14
	s_mov_b32 s19, s3
	v_rcp_iflag_f32_e32 v1, v1
	s_nop 0
	v_mul_f32_e32 v1, 0x4f7ffffe, v1
	v_cvt_u32_f32_e32 v1, v1
	s_nop 0
	v_readfirstlane_b32 s9, v1
	s_mul_i32 s8, s8, s9
	s_mul_hi_u32 s8, s9, s8
	s_add_i32 s9, s9, s8
	s_mul_hi_u32 s8, s2, s9
	s_mul_i32 s10, s8, s14
	s_sub_i32 s10, s2, s10
	s_add_i32 s9, s8, 1
	s_sub_i32 s11, s10, s14
	s_cmp_ge_u32 s10, s14
	s_cselect_b32 s8, s9, s8
	s_cselect_b32 s10, s11, s10
	s_add_i32 s9, s8, 1
	s_cmp_ge_u32 s10, s14
	s_cselect_b32 s18, s9, s8
.LBB0_2:
	s_load_dwordx2 s[10:11], s[4:5], 0x10
	s_load_dwordx2 s[16:17], s[6:7], 0x8
	s_mov_b64 s[4:5], s[18:19]
	s_waitcnt lgkmcnt(0)
	v_mov_b64_e32 v[2:3], s[10:11]
	v_cmp_lt_u64_e32 vcc, s[18:19], v[2:3]
	s_cbranch_vccnz .LBB0_4
; %bb.3:
	v_cvt_f32_u32_e32 v1, s10
	s_sub_i32 s4, 0, s10
	v_rcp_iflag_f32_e32 v1, v1
	s_nop 0
	v_mul_f32_e32 v1, 0x4f7ffffe, v1
	v_cvt_u32_f32_e32 v1, v1
	s_nop 0
	v_readfirstlane_b32 s5, v1
	s_mul_i32 s4, s4, s5
	s_mul_hi_u32 s4, s5, s4
	s_add_i32 s5, s5, s4
	s_mul_hi_u32 s4, s18, s5
	s_mul_i32 s4, s4, s10
	s_sub_i32 s4, s18, s4
	s_sub_i32 s5, s4, s10
	s_cmp_ge_u32 s4, s10
	s_cselect_b32 s4, s5, s4
	s_sub_i32 s5, s4, s10
	s_cmp_ge_u32 s4, s10
	s_cselect_b32 s4, s5, s4
.LBB0_4:
	s_mul_i32 s5, s10, s15
	s_mul_hi_u32 s17, s10, s14
	s_add_i32 s5, s17, s5
	s_mul_i32 s11, s11, s14
	s_load_dwordx2 s[8:9], s[0:1], 0x50
	s_add_i32 s23, s5, s11
	s_mul_i32 s22, s10, s14
	s_load_dwordx2 s[10:11], s[6:7], 0x0
	s_load_dwordx2 s[20:21], s[6:7], 0x10
	v_mov_b64_e32 v[2:3], s[22:23]
	v_cmp_lt_u64_e32 vcc, s[2:3], v[2:3]
	s_mov_b64 s[24:25], 0
	s_cbranch_vccnz .LBB0_6
; %bb.5:
	v_cvt_f32_u32_e32 v1, s22
	s_sub_i32 s3, 0, s22
	v_rcp_iflag_f32_e32 v1, v1
	s_nop 0
	v_mul_f32_e32 v1, 0x4f7ffffe, v1
	v_cvt_u32_f32_e32 v1, v1
	s_nop 0
	v_readfirstlane_b32 s5, v1
	s_mul_i32 s3, s3, s5
	s_mul_hi_u32 s3, s5, s3
	s_add_i32 s5, s5, s3
	s_mul_hi_u32 s3, s2, s5
	s_waitcnt lgkmcnt(0)
	s_mul_i32 s11, s3, s22
	s_sub_i32 s11, s2, s11
	s_add_i32 s5, s3, 1
	s_sub_i32 s17, s11, s22
	s_cmp_ge_u32 s11, s22
	s_cselect_b32 s3, s5, s3
	s_cselect_b32 s11, s17, s11
	s_add_i32 s5, s3, 1
	s_cmp_ge_u32 s11, s22
	s_cselect_b32 s24, s5, s3
.LBB0_6:
	s_mul_i32 s3, s18, s15
	s_mul_hi_u32 s5, s18, s14
	s_add_i32 s5, s5, s3
	s_mul_i32 s3, s18, s14
	s_sub_u32 s14, s2, s3
	s_subb_u32 s2, 0, s5
	s_mul_i32 s5, s2, 14
	s_mul_hi_u32 s2, s14, 14
	s_add_i32 s15, s2, s5
	s_load_dwordx2 s[2:3], s[6:7], 0x18
	v_mul_u32_u24_e32 v1, 0x124a, v0
	s_mul_i32 s6, s14, 14
	v_lshrrev_b32_e32 v51, 16, v1
	s_waitcnt lgkmcnt(0)
	s_mul_i32 s3, s16, s6
	s_mul_i32 s4, s20, s4
	v_mul_lo_u16_e32 v1, 14, v51
	s_add_u32 s3, s4, s3
	s_mul_i32 s2, s2, s24
	v_sub_u16_e32 v6, v0, v1
	v_mov_b32_e32 v7, 0
	s_add_u32 s11, s2, s3
	v_mad_u64_u32 v[4:5], s[2:3], s14, 14, v[6:7]
	s_add_u32 s2, s6, 14
	s_addc_u32 s3, s15, 0
	v_mov_b64_e32 v[2:3], s[12:13]
	v_add_u32_e32 v5, s5, v5
	v_cmp_le_u64_e32 vcc, s[2:3], v[2:3]
	v_mad_u64_u32 v[2:3], s[2:3], s16, v6, 0
	v_cmp_gt_u64_e64 s[2:3], s[12:13], v[4:5]
	s_or_b64 s[12:13], vcc, s[2:3]
	v_mov_b32_e32 v8, 0
	v_mov_b32_e32 v9, 0
	s_and_saveexec_b64 s[4:5], s[12:13]
	s_cbranch_execz .LBB0_8
; %bb.7:
	v_mul_lo_u32 v1, s10, v51
	v_add3_u32 v8, s11, v2, v1
	v_mov_b32_e32 v9, v7
	v_lshl_add_u64 v[8:9], v[8:9], 3, s[8:9]
	global_load_dwordx2 v[8:9], v[8:9], off
.LBB0_8:
	s_or_b64 exec, exec, s[4:5]
	v_mov_b32_e32 v13, 0
	s_and_saveexec_b64 s[4:5], s[12:13]
	s_cbranch_execz .LBB0_10
; %bb.9:
	v_add_u32_e32 v1, 24, v51
	v_mul_lo_u32 v1, s10, v1
	v_add3_u32 v10, s11, v2, v1
	v_mov_b32_e32 v11, 0
	v_lshl_add_u64 v[10:11], v[10:11], 3, s[8:9]
	global_load_dwordx2 v[12:13], v[10:11], off
	s_waitcnt vmcnt(0)
	v_mov_b32_e32 v7, v12
.LBB0_10:
	s_or_b64 exec, exec, s[4:5]
	v_mov_b32_e32 v14, 0
	v_mov_b32_e32 v16, 0
	v_mov_b32_e32 v17, 0
	s_and_saveexec_b64 s[4:5], s[12:13]
	s_cbranch_execz .LBB0_12
; %bb.11:
	v_add_u32_e32 v1, 48, v51
	v_mul_lo_u32 v1, s10, v1
	v_add3_u32 v10, s11, v2, v1
	v_mov_b32_e32 v11, 0
	v_lshl_add_u64 v[10:11], v[10:11], 3, s[8:9]
	global_load_dwordx2 v[16:17], v[10:11], off
.LBB0_12:
	s_or_b64 exec, exec, s[4:5]
	v_add_u32_e32 v3, 0x48, v51
	v_mov_b32_e32 v15, 0
	s_and_saveexec_b64 s[4:5], s[12:13]
	s_cbranch_execz .LBB0_14
; %bb.13:
	v_mul_lo_u32 v1, s10, v3
	v_add3_u32 v10, s11, v2, v1
	v_mov_b32_e32 v11, 0
	v_lshl_add_u64 v[10:11], v[10:11], 3, s[8:9]
	global_load_dwordx2 v[14:15], v[10:11], off
.LBB0_14:
	s_or_b64 exec, exec, s[4:5]
	v_mov_b32_e32 v18, 0
	v_mov_b32_e32 v20, 0
	;; [unrolled: 1-line block ×3, first 2 shown]
	s_and_saveexec_b64 s[4:5], s[12:13]
	s_cbranch_execz .LBB0_16
; %bb.15:
	v_or_b32_e32 v1, 0x60, v51
	v_mul_lo_u32 v1, s10, v1
	v_add3_u32 v10, s11, v2, v1
	v_mov_b32_e32 v11, 0
	v_lshl_add_u64 v[10:11], v[10:11], 3, s[8:9]
	global_load_dwordx2 v[20:21], v[10:11], off
.LBB0_16:
	s_or_b64 exec, exec, s[4:5]
	v_mov_b32_e32 v19, 0
	s_and_saveexec_b64 s[4:5], s[12:13]
	s_cbranch_execz .LBB0_18
; %bb.17:
	v_add_u32_e32 v1, 0x78, v51
	v_mul_lo_u32 v1, s10, v1
	v_add3_u32 v10, s11, v2, v1
	v_mov_b32_e32 v11, 0
	v_lshl_add_u64 v[10:11], v[10:11], 3, s[8:9]
	global_load_dwordx2 v[18:19], v[10:11], off
.LBB0_18:
	s_or_b64 exec, exec, s[4:5]
	v_mov_b32_e32 v28, 0
	v_mov_b32_e32 v26, 0
	;; [unrolled: 1-line block ×3, first 2 shown]
	s_and_saveexec_b64 s[4:5], s[12:13]
	s_cbranch_execz .LBB0_20
; %bb.19:
	v_add_u32_e32 v1, 0x90, v51
	v_mul_lo_u32 v1, s10, v1
	v_add3_u32 v10, s11, v2, v1
	v_mov_b32_e32 v11, 0
	v_lshl_add_u64 v[10:11], v[10:11], 3, s[8:9]
	global_load_dwordx2 v[26:27], v[10:11], off
.LBB0_20:
	s_or_b64 exec, exec, s[4:5]
	v_mov_b32_e32 v29, 0
	s_and_saveexec_b64 s[4:5], s[12:13]
	s_cbranch_execz .LBB0_22
; %bb.21:
	v_add_u32_e32 v1, 0xa8, v51
	v_mul_lo_u32 v1, s10, v1
	v_add3_u32 v10, s11, v2, v1
	v_mov_b32_e32 v11, 0
	v_lshl_add_u64 v[10:11], v[10:11], 3, s[8:9]
	global_load_dwordx2 v[28:29], v[10:11], off
.LBB0_22:
	s_or_b64 exec, exec, s[4:5]
	v_mov_b32_e32 v10, 0
	v_mov_b32_e32 v34, 0
	;; [unrolled: 1-line block ×3, first 2 shown]
	s_and_saveexec_b64 s[4:5], s[12:13]
	s_cbranch_execz .LBB0_24
; %bb.23:
	v_or_b32_e32 v1, 0xc0, v51
	v_mul_lo_u32 v1, s10, v1
	v_add3_u32 v22, s11, v2, v1
	v_mov_b32_e32 v23, 0
	v_lshl_add_u64 v[22:23], v[22:23], 3, s[8:9]
	global_load_dwordx2 v[34:35], v[22:23], off
.LBB0_24:
	s_or_b64 exec, exec, s[4:5]
	s_movk_i32 s6, 0x54
	s_movk_i32 s4, 0x53
	v_cmp_lt_u32_e64 s[4:5], s4, v0
	v_cmp_gt_u32_e64 s[6:7], s6, v0
	v_cndmask_b32_e64 v5, 0, 1, s[2:3]
	s_or_b64 vcc, s[4:5], vcc
	v_cndmask_b32_e64 v1, 0, 1, s[6:7]
	v_cndmask_b32_e32 v1, v5, v1, vcc
	v_and_b32_e32 v1, 1, v1
	v_add_u32_e32 v52, 18, v51
	v_cmp_eq_u32_e32 vcc, 1, v1
	v_mov_b32_e32 v11, 0
	s_and_saveexec_b64 s[2:3], vcc
	s_cbranch_execz .LBB0_26
; %bb.25:
	v_mul_lo_u32 v1, s10, v52
	v_add3_u32 v10, s11, v2, v1
	v_mov_b32_e32 v11, 0
	v_lshl_add_u64 v[10:11], v[10:11], 3, s[8:9]
	global_load_dwordx2 v[10:11], v[10:11], off
.LBB0_26:
	s_or_b64 exec, exec, s[2:3]
	v_mov_b32_e32 v22, 0
	v_mov_b32_e32 v24, 0
	;; [unrolled: 1-line block ×3, first 2 shown]
	s_and_saveexec_b64 s[2:3], vcc
	s_cbranch_execz .LBB0_28
; %bb.27:
	v_add_u32_e32 v1, 42, v51
	v_mul_lo_u32 v1, s10, v1
	v_add3_u32 v24, s11, v2, v1
	v_mov_b32_e32 v25, 0
	v_lshl_add_u64 v[24:25], v[24:25], 3, s[8:9]
	global_load_dwordx2 v[24:25], v[24:25], off
.LBB0_28:
	s_or_b64 exec, exec, s[2:3]
	v_mov_b32_e32 v23, 0
	s_and_saveexec_b64 s[2:3], vcc
	s_cbranch_execz .LBB0_30
; %bb.29:
	v_add_u32_e32 v1, 0x42, v51
	v_mul_lo_u32 v1, s10, v1
	v_add3_u32 v22, s11, v2, v1
	v_mov_b32_e32 v23, 0
	v_lshl_add_u64 v[22:23], v[22:23], 3, s[8:9]
	global_load_dwordx2 v[22:23], v[22:23], off
.LBB0_30:
	s_or_b64 exec, exec, s[2:3]
	v_add_u32_e32 v50, 0x5a, v51
	v_mov_b32_e32 v30, 0
	v_mov_b32_e32 v32, 0
	;; [unrolled: 1-line block ×3, first 2 shown]
	s_and_saveexec_b64 s[2:3], vcc
	s_cbranch_execz .LBB0_32
; %bb.31:
	v_mul_lo_u32 v1, s10, v50
	v_add3_u32 v32, s11, v2, v1
	v_mov_b32_e32 v33, 0
	v_lshl_add_u64 v[32:33], v[32:33], 3, s[8:9]
	global_load_dwordx2 v[32:33], v[32:33], off
.LBB0_32:
	s_or_b64 exec, exec, s[2:3]
	v_mov_b32_e32 v31, 0
	s_and_saveexec_b64 s[2:3], vcc
	s_cbranch_execz .LBB0_34
; %bb.33:
	v_add_u32_e32 v1, 0x72, v51
	v_mul_lo_u32 v1, s10, v1
	v_add3_u32 v30, s11, v2, v1
	v_mov_b32_e32 v31, 0
	v_lshl_add_u64 v[30:31], v[30:31], 3, s[8:9]
	global_load_dwordx2 v[30:31], v[30:31], off
.LBB0_34:
	s_or_b64 exec, exec, s[2:3]
	v_mov_b32_e32 v38, 0
	v_mov_b32_e32 v36, 0
	;; [unrolled: 1-line block ×3, first 2 shown]
	s_and_saveexec_b64 s[2:3], vcc
	s_cbranch_execz .LBB0_36
; %bb.35:
	v_add_u32_e32 v1, 0x8a, v51
	v_mul_lo_u32 v1, s10, v1
	v_add3_u32 v36, s11, v2, v1
	v_mov_b32_e32 v37, 0
	v_lshl_add_u64 v[36:37], v[36:37], 3, s[8:9]
	global_load_dwordx2 v[36:37], v[36:37], off
.LBB0_36:
	s_or_b64 exec, exec, s[2:3]
	v_mov_b32_e32 v39, 0
	s_and_saveexec_b64 s[2:3], vcc
	s_cbranch_execz .LBB0_38
; %bb.37:
	v_add_u32_e32 v1, 0xa2, v51
	v_mul_lo_u32 v1, s10, v1
	v_add3_u32 v38, s11, v2, v1
	v_mov_b32_e32 v39, 0
	v_lshl_add_u64 v[38:39], v[38:39], 3, s[8:9]
	global_load_dwordx2 v[38:39], v[38:39], off
.LBB0_38:
	s_or_b64 exec, exec, s[2:3]
	v_mov_b32_e32 v42, 0
	v_mov_b32_e32 v40, 0
	;; [unrolled: 1-line block ×3, first 2 shown]
	s_and_saveexec_b64 s[2:3], vcc
	s_cbranch_execz .LBB0_40
; %bb.39:
	v_add_u32_e32 v1, 0xba, v51
	v_mul_lo_u32 v1, s10, v1
	v_add3_u32 v40, s11, v2, v1
	v_mov_b32_e32 v41, 0
	v_lshl_add_u64 v[40:41], v[40:41], 3, s[8:9]
	global_load_dwordx2 v[40:41], v[40:41], off
.LBB0_40:
	s_or_b64 exec, exec, s[2:3]
	s_load_dwordx2 s[2:3], s[0:1], 0x0
	v_mov_b32_e32 v43, 0
	s_and_saveexec_b64 s[4:5], vcc
	s_cbranch_execz .LBB0_42
; %bb.41:
	v_add_u32_e32 v1, 0xd2, v51
	v_mul_lo_u32 v1, s10, v1
	v_add3_u32 v42, s11, v2, v1
	v_mov_b32_e32 v43, 0
	v_lshl_add_u64 v[42:43], v[42:43], 3, s[8:9]
	global_load_dwordx2 v[42:43], v[42:43], off
.LBB0_42:
	s_or_b64 exec, exec, s[4:5]
	v_mov_b32_e32 v12, v7
	s_mov_b32 s20, 0x3f248dbb
	s_waitcnt vmcnt(0)
	v_pk_add_f32 v[44:45], v[12:13], v[34:35]
	v_pk_add_f32 v[46:47], v[16:17], v[28:29]
	v_mov_b32_e32 v12, v13
	v_mov_b32_e32 v13, v16
	;; [unrolled: 1-line block ×7, first 2 shown]
	s_mov_b32 s21, 0x3f7c1c5c
	s_movk_i32 s4, 0x3f0
	v_mov_b32_e32 v58, v35
	v_pk_add_f32 v[16:17], v[16:17], v[28:29] neg_lo:[0,1] neg_hi:[0,1]
	s_mov_b32 s22, s21
	s_mov_b32 s23, s20
	v_pk_add_f32 v[48:49], v[14:15], v[26:27]
	v_mad_u32_u24 v1, v51, s4, 0
	v_pk_add_f32 v[12:13], v[12:13], v[58:59] neg_lo:[0,1] neg_hi:[0,1]
	v_pk_add_f32 v[14:15], v[14:15], v[26:27] neg_lo:[0,1] neg_hi:[0,1]
	s_mov_b32 s4, 0x3f5db3d7
	v_pk_mul_f32 v[26:27], v[16:17], s[22:23]
	v_pk_mul_f32 v[14:15], v[14:15], s[4:5] op_sel_hi:[1,0]
	v_pk_fma_f32 v[26:27], v[12:13], s[20:21], v[26:27]
	v_pk_add_f32 v[28:29], v[20:21], v[18:19] neg_lo:[0,1] neg_hi:[0,1]
	s_mov_b32 s6, 0x3eaf1d44
	v_pk_add_f32 v[54:55], v[46:47], v[44:45]
	v_pk_add_f32 v[26:27], v[14:15], v[26:27] op_sel:[1,0] op_sel_hi:[0,1]
	v_pk_mul_f32 v[34:35], v[28:29], s[6:7] op_sel_hi:[1,0]
	s_mov_b32 s16, 0x3f441b7d
	v_pk_add_f32 v[56:57], v[48:49], v[54:55]
	v_pk_add_f32 v[26:27], v[34:35], v[26:27] op_sel:[1,0] op_sel_hi:[0,1]
	v_pk_fma_f32 v[34:35], v[44:45], s[16:17], v[8:9] op_sel_hi:[1,0,1]
	s_mov_b32 s14, 0x3e31d0d4
	v_pk_add_f32 v[56:57], v[20:21], v[56:57]
	v_pk_fma_f32 v[34:35], v[46:47], s[14:15], v[34:35] op_sel_hi:[1,0,1]
	v_pk_add_f32 v[56:57], v[18:19], v[56:57]
	v_pk_fma_f32 v[34:35], v[48:49], 0.5, v[34:35] op_sel_hi:[1,0,1] neg_lo:[1,0,0] neg_hi:[1,0,0]
	v_pk_add_f32 v[18:19], v[20:21], v[18:19]
	s_mov_b32 s18, 0x3f708fb2
	v_pk_fma_f32 v[20:21], v[18:19], s[18:19], v[34:35] op_sel_hi:[1,0,1] neg_lo:[1,0,0] neg_hi:[1,0,0]
	v_lshl_add_u32 v5, v6, 3, v1
	v_pk_add_f32 v[34:35], v[20:21], v[26:27]
	v_pk_add_f32 v[20:21], v[20:21], v[26:27] neg_lo:[0,1] neg_hi:[0,1]
	v_pk_add_f32 v[56:57], v[8:9], v[56:57]
	v_mov_b32_e32 v35, v21
	v_fma_f32 v20, -2.0, v26, v34
	v_fmac_f32_e32 v21, 2.0, v27
	ds_write2_b64 v5, v[56:57], v[34:35] offset1:14
	v_pk_mul_f32 v[26:27], v[28:29], s[20:21] op_sel_hi:[1,0]
	v_mov_b32_e32 v34, v12
	v_mov_b32_e32 v35, v17
	s_mov_b32 s26, s21
	v_pk_fma_f32 v[58:59], v[18:19], s[16:17], v[8:9] op_sel_hi:[1,0,1]
	v_pk_fma_f32 v[26:27], v[34:35], s[26:27], v[26:27] op_sel:[0,0,1] op_sel_hi:[1,0,0] neg_lo:[0,0,1] neg_hi:[0,0,1]
	v_pk_fma_f32 v[58:59], v[44:45], s[14:15], v[58:59] op_sel_hi:[1,0,1]
	v_pk_add_f32 v[26:27], v[26:27], v[14:15] op_sel:[0,1] op_sel_hi:[1,0] neg_lo:[0,1] neg_hi:[0,1]
	v_mov_b32_e32 v56, v16
	v_mov_b32_e32 v57, v13
	v_pk_fma_f32 v[58:59], v[48:49], 0.5, v[58:59] op_sel_hi:[1,0,1] neg_lo:[1,0,0] neg_hi:[1,0,0]
	v_pk_fma_f32 v[26:27], v[56:57], s[6:7], v[26:27] op_sel_hi:[1,0,1]
	v_pk_fma_f32 v[58:59], v[46:47], s[18:19], v[58:59] op_sel_hi:[1,0,1] neg_lo:[1,0,0] neg_hi:[1,0,0]
	v_mov_b32_e32 v62, v17
	v_mov_b32_e32 v63, v12
	v_pk_add_f32 v[60:61], v[58:59], v[26:27]
	v_pk_add_f32 v[58:59], v[58:59], v[26:27] neg_lo:[0,1] neg_hi:[0,1]
	v_pk_add_f32 v[62:63], v[28:29], v[62:63]
	v_mov_b32_e32 v12, v13
	v_mov_b32_e32 v13, v16
	v_fma_f32 v58, -2.0, v26, v60
	v_mov_b32_e32 v61, v59
	v_fmac_f32_e32 v59, 2.0, v27
	v_pk_add_f32 v[26:27], v[8:9], v[48:49]
	v_pk_add_f32 v[12:13], v[62:63], v[12:13] neg_lo:[0,1] neg_hi:[0,1]
	v_pk_add_f32 v[16:17], v[18:19], v[54:55]
	v_pk_mul_f32 v[12:13], v[12:13], s[4:5] op_sel_hi:[1,0]
	v_pk_fma_f32 v[16:17], v[16:17], 0.5, v[26:27] op_sel_hi:[1,0,1] neg_lo:[1,0,0] neg_hi:[1,0,0]
	v_pk_fma_f32 v[8:9], v[46:47], s[16:17], v[8:9] op_sel_hi:[1,0,1]
	v_pk_add_f32 v[26:27], v[16:17], v[12:13] op_sel:[0,1] op_sel_hi:[1,0]
	v_pk_add_f32 v[16:17], v[16:17], v[12:13] op_sel:[0,1] op_sel_hi:[1,0] neg_lo:[0,1] neg_hi:[0,1]
	s_mov_b32 s24, 0xbf248dbb
	v_fma_f32 v16, -2.0, v13, v26
	v_mov_b32_e32 v27, v17
	v_fmac_f32_e32 v17, 2.0, v12
	v_pk_mul_f32 v[12:13], v[28:29], s[26:27] op_sel_hi:[1,0]
	v_pk_fma_f32 v[8:9], v[18:19], s[14:15], v[8:9] op_sel_hi:[1,0,1]
	v_pk_fma_f32 v[12:13], v[56:57], s[24:25], v[12:13] op_sel:[0,0,1] op_sel_hi:[1,0,0] neg_lo:[0,0,1] neg_hi:[0,0,1]
	v_pk_fma_f32 v[8:9], v[48:49], 0.5, v[8:9] op_sel_hi:[1,0,1] neg_lo:[1,0,0] neg_hi:[1,0,0]
	v_pk_add_f32 v[12:13], v[14:15], v[12:13] op_sel:[1,0] op_sel_hi:[0,1]
	v_pk_fma_f32 v[12:13], v[34:35], s[6:7], v[12:13] op_sel_hi:[1,0,1]
	v_pk_fma_f32 v[8:9], v[44:45], s[18:19], v[8:9] op_sel_hi:[1,0,1] neg_lo:[1,0,0] neg_hi:[1,0,0]
	s_movk_i32 s5, 0x54
	v_pk_add_f32 v[14:15], v[8:9], v[12:13]
	v_pk_add_f32 v[8:9], v[8:9], v[12:13] neg_lo:[0,1] neg_hi:[0,1]
	v_cmp_gt_u32_e32 vcc, s5, v0
	v_fma_f32 v8, -2.0, v12, v14
	v_mov_b32_e32 v15, v9
	v_fmac_f32_e32 v9, 2.0, v13
	ds_write2_b64 v5, v[60:61], v[26:27] offset0:28 offset1:42
	ds_write2_b64 v5, v[14:15], v[8:9] offset0:56 offset1:70
	;; [unrolled: 1-line block ×3, first 2 shown]
	ds_write_b64 v5, v[20:21] offset:896
	s_and_saveexec_b64 s[26:27], vcc
	s_cbranch_execz .LBB0_44
; %bb.43:
	v_pk_add_f32 v[8:9], v[22:23], v[40:41]
	v_pk_add_f32 v[14:15], v[24:25], v[42:43]
	;; [unrolled: 1-line block ×4, first 2 shown]
	v_mov_b32_e32 v20, v23
	v_mov_b32_e32 v21, v24
	v_mov_b32_e32 v26, v41
	v_mov_b32_e32 v27, v42
	v_pk_add_f32 v[18:19], v[12:13], v[16:17]
	v_pk_add_f32 v[20:21], v[20:21], v[26:27] neg_lo:[0,1] neg_hi:[0,1]
	v_mov_b32_e32 v24, v25
	v_mov_b32_e32 v25, v22
	;; [unrolled: 1-line block ×4, first 2 shown]
	v_pk_add_f32 v[18:19], v[30:31], v[18:19]
	v_pk_add_f32 v[22:23], v[24:25], v[22:23] neg_lo:[0,1] neg_hi:[0,1]
	v_pk_add_f32 v[24:25], v[30:31], v[36:37] neg_lo:[0,1] neg_hi:[0,1]
	v_pk_add_f32 v[26:27], v[32:33], v[38:39] neg_lo:[0,1] neg_hi:[0,1]
	v_pk_add_f32 v[28:29], v[30:31], v[36:37]
	v_pk_mul_f32 v[30:31], v[20:21], s[22:23]
	v_pk_mul_f32 v[26:27], v[26:27], s[4:5] op_sel_hi:[1,0]
	v_pk_fma_f32 v[30:31], v[22:23], s[20:21], v[30:31]
	v_pk_mul_f32 v[32:33], v[24:25], s[6:7] op_sel_hi:[1,0]
	v_pk_add_f32 v[30:31], v[26:27], v[30:31] op_sel:[1,0] op_sel_hi:[0,1]
	v_pk_add_f32 v[30:31], v[32:33], v[30:31] op_sel:[1,0] op_sel_hi:[0,1]
	v_pk_fma_f32 v[32:33], v[14:15], s[16:17], v[10:11] op_sel_hi:[1,0,1]
	v_pk_add_f32 v[18:19], v[36:37], v[18:19]
	v_pk_fma_f32 v[32:33], v[8:9], s[14:15], v[32:33] op_sel_hi:[1,0,1]
	v_pk_add_f32 v[18:19], v[10:11], v[18:19]
	v_pk_fma_f32 v[32:33], v[12:13], 0.5, v[32:33] op_sel_hi:[1,0,1] neg_lo:[1,0,0] neg_hi:[1,0,0]
	v_add_u32_e32 v7, 0x4000, v5
	v_pk_fma_f32 v[32:33], v[28:29], s[18:19], v[32:33] op_sel_hi:[1,0,1] neg_lo:[1,0,0] neg_hi:[1,0,0]
	s_mov_b32 s22, s21
	v_pk_add_f32 v[34:35], v[32:33], v[30:31]
	v_pk_add_f32 v[32:33], v[32:33], v[30:31] neg_lo:[0,1] neg_hi:[0,1]
	v_mov_b32_e32 v36, v34
	v_mov_b32_e32 v35, v33
	v_fma_f32 v37, 2.0, v31, v33
	v_fmac_f32_e32 v36, -2.0, v30
	ds_write2_b64 v7, v[18:19], v[34:35] offset0:220 offset1:234
	v_mov_b32_e32 v30, v22
	v_mov_b32_e32 v31, v21
	v_pk_mul_f32 v[32:33], v[24:25], s[20:21] op_sel_hi:[1,0]
	v_pk_fma_f32 v[34:35], v[28:29], s[16:17], v[10:11] op_sel_hi:[1,0,1]
	v_pk_fma_f32 v[32:33], v[30:31], s[22:23], v[32:33] op_sel:[0,0,1] op_sel_hi:[1,0,0] neg_lo:[0,0,1] neg_hi:[0,0,1]
	v_pk_fma_f32 v[34:35], v[14:15], s[14:15], v[34:35] op_sel_hi:[1,0,1]
	v_mov_b32_e32 v18, v20
	v_mov_b32_e32 v19, v23
	v_pk_add_f32 v[32:33], v[32:33], v[26:27] op_sel:[0,1] op_sel_hi:[1,0] neg_lo:[0,1] neg_hi:[0,1]
	v_pk_fma_f32 v[34:35], v[12:13], 0.5, v[34:35] op_sel_hi:[1,0,1] neg_lo:[1,0,0] neg_hi:[1,0,0]
	v_pk_fma_f32 v[32:33], v[18:19], s[6:7], v[32:33] op_sel_hi:[1,0,1]
	v_pk_fma_f32 v[34:35], v[8:9], s[18:19], v[34:35] op_sel_hi:[1,0,1] neg_lo:[1,0,0] neg_hi:[1,0,0]
	v_pk_fma_f32 v[8:9], v[8:9], s[16:17], v[10:11] op_sel_hi:[1,0,1]
	v_pk_add_f32 v[38:39], v[34:35], v[32:33]
	v_pk_add_f32 v[34:35], v[34:35], v[32:33] neg_lo:[0,1] neg_hi:[0,1]
	v_mov_b32_e32 v40, v38
	v_fma_f32 v41, 2.0, v33, v35
	v_mov_b32_e32 v39, v35
	v_fmac_f32_e32 v40, -2.0, v32
	v_pk_add_f32 v[32:33], v[10:11], v[12:13]
	v_mov_b32_e32 v34, v21
	v_mov_b32_e32 v35, v22
	v_pk_mul_f32 v[10:11], v[24:25], s[22:23] op_sel_hi:[1,0]
	v_pk_add_f32 v[34:35], v[24:25], v[34:35]
	v_mov_b32_e32 v22, v23
	v_mov_b32_e32 v23, v20
	v_pk_fma_f32 v[10:11], v[18:19], s[24:25], v[10:11] op_sel:[0,0,1] op_sel_hi:[1,0,0] neg_lo:[0,0,1] neg_hi:[0,0,1]
	v_pk_fma_f32 v[8:9], v[28:29], s[14:15], v[8:9] op_sel_hi:[1,0,1]
	v_pk_add_f32 v[20:21], v[34:35], v[22:23] neg_lo:[0,1] neg_hi:[0,1]
	v_pk_add_f32 v[16:17], v[28:29], v[16:17]
	v_pk_add_f32 v[10:11], v[26:27], v[10:11] op_sel:[1,0] op_sel_hi:[0,1]
	v_pk_fma_f32 v[8:9], v[12:13], 0.5, v[8:9] op_sel_hi:[1,0,1] neg_lo:[1,0,0] neg_hi:[1,0,0]
	v_pk_mul_f32 v[20:21], v[20:21], s[4:5] op_sel_hi:[1,0]
	v_pk_fma_f32 v[16:17], v[16:17], 0.5, v[32:33] op_sel_hi:[1,0,1] neg_lo:[1,0,0] neg_hi:[1,0,0]
	v_pk_fma_f32 v[10:11], v[30:31], s[6:7], v[10:11] op_sel_hi:[1,0,1]
	v_pk_fma_f32 v[8:9], v[14:15], s[18:19], v[8:9] op_sel_hi:[1,0,1] neg_lo:[1,0,0] neg_hi:[1,0,0]
	v_pk_add_f32 v[22:23], v[16:17], v[20:21] op_sel:[0,1] op_sel_hi:[1,0]
	v_pk_add_f32 v[16:17], v[16:17], v[20:21] op_sel:[0,1] op_sel_hi:[1,0] neg_lo:[0,1] neg_hi:[0,1]
	v_pk_add_f32 v[12:13], v[8:9], v[10:11]
	v_mov_b32_e32 v23, v17
	v_add_u32_e32 v7, 0x4400, v5
	v_pk_add_f32 v[8:9], v[8:9], v[10:11] neg_lo:[0,1] neg_hi:[0,1]
	v_mov_b32_e32 v14, v12
	v_mov_b32_e32 v32, v22
	ds_write2_b64 v7, v[38:39], v[22:23] offset0:120 offset1:134
	v_fma_f32 v15, 2.0, v11, v9
	v_mov_b32_e32 v13, v9
	v_fmac_f32_e32 v14, -2.0, v10
	v_add_u32_e32 v7, 0x4800, v5
	v_fma_f32 v33, 2.0, v20, v17
	v_fmac_f32_e32 v32, -2.0, v21
	ds_write2_b64 v7, v[12:13], v[14:15] offset0:20 offset1:34
	ds_write2_b64 v7, v[32:33], v[40:41] offset0:48 offset1:62
	ds_write_b64 v5, v[36:37] offset:19040
.LBB0_44:
	s_or_b64 exec, exec, s[26:27]
	v_mul_lo_u16_e32 v5, 57, v52
	v_lshrrev_b16_e32 v48, 9, v5
	v_mul_lo_u16_e32 v5, 9, v48
	v_sub_u16_e32 v5, v52, v5
	v_add_u32_e32 v53, 36, v51
	v_and_b32_e32 v49, 0xff, v5
	v_mul_u32_u24_e32 v5, 3, v49
	v_mul_lo_u16_e32 v54, 57, v53
	v_lshlrev_b32_e32 v5, 3, v5
	v_lshrrev_b16_e32 v56, 9, v54
	s_waitcnt lgkmcnt(0)
	s_barrier
	global_load_dwordx2 v[28:29], v5, s[2:3] offset:16
	global_load_dwordx4 v[12:15], v5, s[2:3]
	v_mul_lo_u16_e32 v5, 9, v56
	v_sub_u16_e32 v5, v53, v5
	v_and_b32_e32 v57, 0xff, v5
	v_mul_lo_u16_e32 v5, 29, v51
	v_lshrrev_b16_e32 v58, 8, v5
	v_mul_lo_u16_e32 v5, 9, v58
	v_sub_u16_e32 v5, v51, v5
	v_and_b32_e32 v59, 0xff, v5
	v_mul_u32_u24_e32 v5, 3, v59
	v_lshlrev_b32_e32 v60, 3, v5
	v_mul_u32_u24_e32 v5, 3, v57
	global_load_dwordx4 v[16:19], v60, s[2:3]
	v_lshlrev_b32_e32 v42, 3, v5
	global_load_dwordx2 v[30:31], v42, s[2:3] offset:16
	v_mul_i32_i24_e32 v5, 0xfffffc80, v51
	v_lshlrev_b32_e32 v10, 3, v6
	v_add3_u32 v1, v1, v5, v10
	v_add_u32_e32 v5, 0x1f80, v1
	v_add_u32_e32 v55, 0x2f40, v1
	;; [unrolled: 1-line block ×3, first 2 shown]
	ds_read2_b64 v[6:9], v5 offset1:252
	ds_read2_b64 v[20:23], v11 offset1:252
	;; [unrolled: 1-line block ×3, first 2 shown]
	v_add_u32_e32 v5, 0xfc0, v1
	s_movk_i32 s5, 0x6c
	s_waitcnt vmcnt(3) lgkmcnt(1)
	v_pk_mul_f32 v[34:35], v[20:21], v[28:29] op_sel:[0,1]
	s_waitcnt vmcnt(2)
	v_pk_mul_f32 v[32:33], v[12:13], v[6:7] op_sel:[0,1]
	v_mov_b32_e32 v36, v15
	v_pk_fma_f32 v[38:39], v[12:13], v[6:7], v[32:33] op_sel:[0,0,1] op_sel_hi:[1,1,0] neg_lo:[0,0,1] neg_hi:[0,0,1]
	v_pk_fma_f32 v[32:33], v[12:13], v[6:7], v[32:33] op_sel:[0,0,1] op_sel_hi:[1,0,0]
	s_waitcnt lgkmcnt(0)
	v_pk_mul_f32 v[6:7], v[26:27], v[36:37] op_sel_hi:[1,0]
	v_mov_b32_e32 v39, v33
	v_pk_fma_f32 v[36:37], v[26:27], v[14:15], v[6:7] op_sel:[0,0,1] op_sel_hi:[1,1,0] neg_lo:[0,0,1] neg_hi:[0,0,1]
	v_pk_fma_f32 v[26:27], v[26:27], v[14:15], v[6:7] op_sel:[0,0,1] op_sel_hi:[1,0,0]
	ds_read2_b64 v[12:15], v5 offset1:252
	v_mov_b32_e32 v37, v27
	s_waitcnt vmcnt(1)
	v_pk_mul_f32 v[6:7], v[18:19], v[24:25] op_sel:[0,1]
	s_nop 0
	v_pk_fma_f32 v[40:41], v[18:19], v[24:25], v[6:7] op_sel:[0,0,1] op_sel_hi:[1,1,0] neg_lo:[0,0,1] neg_hi:[0,0,1]
	v_pk_fma_f32 v[18:19], v[18:19], v[24:25], v[6:7] op_sel:[0,0,1] op_sel_hi:[1,0,0]
	s_waitcnt vmcnt(0)
	v_pk_mul_f32 v[6:7], v[22:23], v[30:31] op_sel:[0,1]
	v_pk_fma_f32 v[24:25], v[20:21], v[28:29], v[34:35] op_sel:[0,0,1] op_sel_hi:[1,1,0] neg_lo:[0,0,1] neg_hi:[0,0,1]
	v_pk_fma_f32 v[20:21], v[20:21], v[28:29], v[34:35] op_sel:[0,0,1] op_sel_hi:[1,0,0]
	v_pk_fma_f32 v[28:29], v[22:23], v[30:31], v[6:7] op_sel:[0,0,1] op_sel_hi:[1,1,0] neg_lo:[0,0,1] neg_hi:[0,0,1]
	v_pk_fma_f32 v[22:23], v[22:23], v[30:31], v[6:7] op_sel:[0,0,1] op_sel_hi:[1,0,0]
	s_waitcnt lgkmcnt(0)
	v_pk_mul_f32 v[6:7], v[16:17], v[14:15] op_sel:[0,1]
	v_mov_b32_e32 v25, v21
	v_pk_fma_f32 v[30:31], v[16:17], v[14:15], v[6:7] op_sel:[0,0,1] op_sel_hi:[1,1,0] neg_lo:[0,0,1] neg_hi:[0,0,1]
	v_pk_fma_f32 v[34:35], v[16:17], v[14:15], v[6:7] op_sel:[0,0,1] op_sel_hi:[1,0,0]
	global_load_dwordx4 v[14:17], v42, s[2:3]
	global_load_dwordx2 v[20:21], v60, s[2:3] offset:16
	v_add_u32_e32 v22, 0x3f00, v1
	v_mad_u32_u24 v18, v48, 36, v49
	v_mul_u32_u24_e32 v18, 0x70, v18
	v_mov_b32_e32 v41, v19
	v_mov_b32_e32 v31, v35
	;; [unrolled: 1-line block ×3, first 2 shown]
	v_mad_u32_u24 v23, v56, 36, v57
	v_pk_add_f32 v[24:25], v[38:39], v[24:25] neg_lo:[0,1] neg_hi:[0,1]
	s_waitcnt vmcnt(1)
	v_pk_mul_f32 v[6:7], v[8:9], v[14:15] op_sel:[0,1]
	s_nop 0
	v_pk_fma_f32 v[42:43], v[8:9], v[14:15], v[6:7] op_sel:[0,0,1] op_sel_hi:[1,1,0] neg_lo:[0,0,1] neg_hi:[0,0,1]
	v_pk_fma_f32 v[14:15], v[8:9], v[14:15], v[6:7] op_sel:[0,0,1] op_sel_hi:[1,0,0]
	ds_read2_b64 v[6:9], v22 offset1:252
	v_mov_b32_e32 v14, v17
	v_mov_b32_e32 v43, v15
	s_waitcnt lgkmcnt(0)
	v_pk_mul_f32 v[44:45], v[6:7], v[14:15] op_sel_hi:[1,0]
	s_nop 0
	v_pk_fma_f32 v[46:47], v[6:7], v[16:17], v[44:45] op_sel:[0,0,1] op_sel_hi:[1,1,0] neg_lo:[0,0,1] neg_hi:[0,0,1]
	v_pk_fma_f32 v[6:7], v[6:7], v[16:17], v[44:45] op_sel:[0,0,1] op_sel_hi:[1,0,0]
	ds_read2_b64 v[14:17], v1 offset1:252
	v_add3_u32 v45, 0, v18, v10
	s_waitcnt vmcnt(0)
	v_pk_mul_f32 v[18:19], v[20:21], v[8:9] op_sel:[0,1]
	v_mad_u32_u24 v6, v58, 36, v59
	v_pk_fma_f32 v[34:35], v[20:21], v[8:9], v[18:19] op_sel:[0,0,1] op_sel_hi:[1,1,0] neg_lo:[0,0,1] neg_hi:[0,0,1]
	v_pk_fma_f32 v[8:9], v[20:21], v[8:9], v[18:19] op_sel:[0,0,1] op_sel_hi:[1,0,0]
	v_mul_u32_u24_e32 v6, 0x70, v6
	v_mov_b32_e32 v35, v9
	s_waitcnt lgkmcnt(0)
	v_pk_add_f32 v[8:9], v[14:15], v[40:41] neg_lo:[0,1] neg_hi:[0,1]
	v_pk_add_f32 v[18:19], v[30:31], v[34:35] neg_lo:[0,1] neg_hi:[0,1]
	v_pk_fma_f32 v[14:15], v[14:15], 2.0, v[8:9] op_sel_hi:[1,0,1] neg_lo:[0,0,1] neg_hi:[0,0,1]
	v_pk_fma_f32 v[20:21], v[30:31], 2.0, v[18:19] op_sel_hi:[1,0,1] neg_lo:[0,0,1] neg_hi:[0,0,1]
	v_pk_add_f32 v[30:31], v[8:9], v[18:19] op_sel:[0,1] op_sel_hi:[1,0] neg_lo:[0,1] neg_hi:[0,1]
	v_pk_add_f32 v[18:19], v[8:9], v[18:19] op_sel:[0,1] op_sel_hi:[1,0]
	v_pk_add_f32 v[20:21], v[14:15], v[20:21] neg_lo:[0,1] neg_hi:[0,1]
	v_mov_b32_e32 v31, v19
	v_add3_u32 v44, 0, v6, v10
	v_pk_fma_f32 v[14:15], v[14:15], 2.0, v[20:21] op_sel_hi:[1,0,1] neg_lo:[0,0,1] neg_hi:[0,0,1]
	v_pk_fma_f32 v[8:9], v[8:9], 2.0, v[30:31] op_sel_hi:[1,0,1] neg_lo:[0,0,1] neg_hi:[0,0,1]
	v_mul_u32_u24_e32 v6, 0x70, v23
	v_pk_add_f32 v[26:27], v[16:17], v[36:37] neg_lo:[0,1] neg_hi:[0,1]
	s_barrier
	ds_write2_b64 v44, v[14:15], v[8:9] offset1:126
	v_add_u32_e32 v8, 0x400, v44
	v_add3_u32 v23, 0, v6, v10
	v_mov_b32_e32 v47, v7
	v_pk_add_f32 v[6:7], v[42:43], v[28:29] neg_lo:[0,1] neg_hi:[0,1]
	v_pk_fma_f32 v[28:29], v[38:39], 2.0, v[24:25] op_sel_hi:[1,0,1] neg_lo:[0,0,1] neg_hi:[0,0,1]
	v_pk_fma_f32 v[16:17], v[16:17], 2.0, v[26:27] op_sel_hi:[1,0,1] neg_lo:[0,0,1] neg_hi:[0,0,1]
	ds_write2_b64 v8, v[20:21], v[30:31] offset0:124 offset1:250
	v_pk_add_f32 v[8:9], v[26:27], v[24:25] op_sel:[0,1] op_sel_hi:[1,0] neg_lo:[0,1] neg_hi:[0,1]
	v_pk_add_f32 v[14:15], v[26:27], v[24:25] op_sel:[0,1] op_sel_hi:[1,0]
	v_pk_add_f32 v[28:29], v[16:17], v[28:29] neg_lo:[0,1] neg_hi:[0,1]
	v_mov_b32_e32 v9, v15
	v_pk_fma_f32 v[16:17], v[16:17], 2.0, v[28:29] op_sel_hi:[1,0,1] neg_lo:[0,0,1] neg_hi:[0,0,1]
	v_pk_fma_f32 v[14:15], v[26:27], 2.0, v[8:9] op_sel_hi:[1,0,1] neg_lo:[0,0,1] neg_hi:[0,0,1]
	v_pk_add_f32 v[32:33], v[12:13], v[46:47] neg_lo:[0,1] neg_hi:[0,1]
	ds_write2_b64 v45, v[16:17], v[14:15] offset1:126
	v_add_u32_e32 v14, 0x400, v45
	v_pk_fma_f32 v[36:37], v[42:43], 2.0, v[6:7] op_sel_hi:[1,0,1] neg_lo:[0,0,1] neg_hi:[0,0,1]
	v_pk_fma_f32 v[12:13], v[12:13], 2.0, v[32:33] op_sel_hi:[1,0,1] neg_lo:[0,0,1] neg_hi:[0,0,1]
	ds_write2_b64 v14, v[28:29], v[8:9] offset0:124 offset1:250
	v_pk_add_f32 v[8:9], v[32:33], v[6:7] op_sel:[0,1] op_sel_hi:[1,0] neg_lo:[0,1] neg_hi:[0,1]
	v_pk_add_f32 v[6:7], v[32:33], v[6:7] op_sel:[0,1] op_sel_hi:[1,0]
	v_pk_add_f32 v[36:37], v[12:13], v[36:37] neg_lo:[0,1] neg_hi:[0,1]
	v_mov_b32_e32 v9, v7
	v_pk_fma_f32 v[12:13], v[12:13], 2.0, v[36:37] op_sel_hi:[1,0,1] neg_lo:[0,0,1] neg_hi:[0,0,1]
	v_pk_fma_f32 v[6:7], v[32:33], 2.0, v[8:9] op_sel_hi:[1,0,1] neg_lo:[0,0,1] neg_hi:[0,0,1]
	ds_write2_b64 v23, v[12:13], v[6:7] offset1:126
	v_add_u32_e32 v6, 0x400, v23
	v_lshrrev_b16_e32 v16, 11, v54
	ds_write2_b64 v6, v[36:37], v[8:9] offset0:124 offset1:250
	v_mul_lo_u16_e32 v6, 36, v16
	v_sub_u16_e32 v6, v53, v6
	v_mul_lo_u16_e32 v12, 29, v52
	v_and_b32_e32 v17, 0xff, v6
	v_lshrrev_b16_e32 v19, 10, v12
	v_lshlrev_b32_e32 v6, 4, v17
	v_mul_lo_u16_e32 v12, 36, v19
	s_waitcnt lgkmcnt(0)
	s_barrier
	global_load_dwordx4 v[6:9], v6, s[2:3] offset:216
	v_sub_u16_e32 v12, v52, v12
	v_and_b32_e32 v20, 0xff, v12
	v_lshlrev_b32_e32 v12, 4, v20
	global_load_dwordx4 v[12:15], v12, s[2:3] offset:216
	v_add_u32_e32 v54, 54, v51
	v_mul_lo_u16_e32 v18, 57, v54
	v_lshrrev_b16_e32 v23, 11, v18
	v_mul_lo_u16_e32 v18, 36, v23
	v_sub_u16_e32 v18, v54, v18
	v_and_b32_e32 v48, 0xff, v18
	v_lshlrev_b32_e32 v18, 4, v48
	global_load_dwordx4 v[24:27], v18, s[2:3] offset:216
	v_lshlrev_b32_e32 v18, 4, v51
	global_load_dwordx4 v[28:31], v18, s[2:3] offset:216
	v_add_u32_e32 v21, 0x3720, v1
	ds_read2_b64 v[32:35], v21 offset1:252
	v_add_u32_e32 v21, 0x2760, v1
	ds_read2_b64 v[36:39], v21 offset1:252
	;; [unrolled: 2-line block ×3, first 2 shown]
	v_mad_u32_u24 v16, v16, s5, v17
	v_mul_u32_u24_e32 v16, 0x70, v16
	v_mul_u32_u24_e32 v21, 0x70, v51
	v_add3_u32 v57, 0, v16, v10
	v_add3_u32 v56, 0, v21, v10
	v_mad_u32_u24 v19, v19, s5, v20
	v_mul_u32_u24_e32 v18, 0x70, v3
	v_add3_u32 v18, 0, v18, v10
	v_mul_u32_u24_e32 v19, 0x70, v19
	v_add3_u32 v19, 0, v19, v10
	s_waitcnt vmcnt(3) lgkmcnt(1)
	v_pk_mul_f32 v[16:17], v[6:7], v[38:39] op_sel:[0,1]
	s_nop 0
	v_pk_fma_f32 v[20:21], v[6:7], v[38:39], v[16:17] op_sel:[0,0,1] op_sel_hi:[1,1,0] neg_lo:[0,0,1] neg_hi:[0,0,1]
	v_pk_fma_f32 v[16:17], v[6:7], v[38:39], v[16:17] op_sel:[0,0,1] op_sel_hi:[1,0,0]
	v_mov_b32_e32 v6, v9
	s_waitcnt lgkmcnt(0)
	v_pk_mul_f32 v[6:7], v[42:43], v[6:7] op_sel_hi:[1,0]
	v_mov_b32_e32 v21, v17
	v_pk_fma_f32 v[38:39], v[42:43], v[8:9], v[6:7] op_sel:[0,0,1] op_sel_hi:[1,1,0] neg_lo:[0,0,1] neg_hi:[0,0,1]
	v_pk_fma_f32 v[42:43], v[42:43], v[8:9], v[6:7] op_sel:[0,0,1] op_sel_hi:[1,0,0]
	s_waitcnt vmcnt(2)
	v_pk_mul_f32 v[6:7], v[12:13], v[36:37] op_sel:[0,1]
	v_mad_u32_u24 v8, v23, s5, v48
	v_pk_fma_f32 v[44:45], v[12:13], v[36:37], v[6:7] op_sel:[0,0,1] op_sel_hi:[1,1,0] neg_lo:[0,0,1] neg_hi:[0,0,1]
	v_pk_fma_f32 v[36:37], v[12:13], v[36:37], v[6:7] op_sel:[0,0,1] op_sel_hi:[1,0,0]
	v_pk_mul_f32 v[6:7], v[14:15], v[40:41] op_sel:[0,1]
	s_waitcnt vmcnt(1)
	v_mov_b32_e32 v12, v27
	v_pk_fma_f32 v[46:47], v[14:15], v[40:41], v[6:7] op_sel:[0,0,1] op_sel_hi:[1,1,0] neg_lo:[0,0,1] neg_hi:[0,0,1]
	v_pk_fma_f32 v[40:41], v[14:15], v[40:41], v[6:7] op_sel:[0,0,1] op_sel_hi:[1,0,0]
	ds_read_b64 v[6:7], v1 offset:22176
	v_mul_u32_u24_e32 v16, 0x70, v8
	v_pk_mul_f32 v[8:9], v[32:33], v[24:25] op_sel:[0,1]
	v_add3_u32 v23, 0, v16, v10
	v_pk_fma_f32 v[14:15], v[32:33], v[24:25], v[8:9] op_sel:[0,0,1] op_sel_hi:[1,0,0]
	s_waitcnt lgkmcnt(0)
	v_pk_mul_f32 v[12:13], v[6:7], v[12:13] op_sel_hi:[1,0]
	v_mov_b32_e32 v45, v37
	v_pk_fma_f32 v[48:49], v[6:7], v[26:27], v[12:13] op_sel:[0,0,1] op_sel_hi:[1,1,0] neg_lo:[0,0,1] neg_hi:[0,0,1]
	v_pk_fma_f32 v[12:13], v[6:7], v[26:27], v[12:13] op_sel:[0,0,1] op_sel_hi:[1,0,0]
	v_pk_fma_f32 v[26:27], v[32:33], v[24:25], v[8:9] op_sel:[0,0,1] op_sel_hi:[1,1,0] neg_lo:[0,0,1] neg_hi:[0,0,1]
	ds_read2_b64 v[6:9], v5 offset1:252
	v_mov_b32_e32 v27, v15
	ds_read_b64 v[14:15], v18
	v_mov_b32_e32 v49, v13
	v_mov_b32_e32 v47, v41
	s_waitcnt lgkmcnt(1)
	v_pk_add_f32 v[12:13], v[8:9], v[26:27]
	v_mov_b32_e32 v39, v43
	v_pk_add_f32 v[24:25], v[12:13], v[48:49]
	s_waitcnt vmcnt(0)
	v_pk_mul_f32 v[12:13], v[30:31], v[34:35] op_sel:[0,1]
	s_nop 0
	v_pk_fma_f32 v[16:17], v[30:31], v[34:35], v[12:13] op_sel:[0,0,1] op_sel_hi:[1,1,0] neg_lo:[0,0,1] neg_hi:[0,0,1]
	v_pk_fma_f32 v[30:31], v[30:31], v[34:35], v[12:13] op_sel:[0,0,1] op_sel_hi:[1,0,0]
	s_waitcnt lgkmcnt(0)
	v_pk_mul_f32 v[12:13], v[28:29], v[14:15] op_sel:[0,1]
	v_mov_b32_e32 v17, v31
	v_pk_fma_f32 v[32:33], v[28:29], v[14:15], v[12:13] op_sel:[0,0,1] op_sel_hi:[1,1,0] neg_lo:[0,0,1] neg_hi:[0,0,1]
	v_pk_fma_f32 v[28:29], v[28:29], v[14:15], v[12:13] op_sel:[0,0,1] op_sel_hi:[1,0,0]
	ds_read2_b64 v[12:15], v1 offset1:252
	v_mov_b32_e32 v33, v29
	s_waitcnt lgkmcnt(0)
	s_barrier
	v_pk_add_f32 v[28:29], v[12:13], v[32:33]
	v_pk_add_f32 v[36:37], v[14:15], v[44:45]
	;; [unrolled: 1-line block ×3, first 2 shown]
	ds_write_b64 v56, v[28:29]
	v_pk_add_f32 v[28:29], v[32:33], v[16:17]
	v_pk_add_f32 v[16:17], v[32:33], v[16:17] neg_lo:[0,1] neg_hi:[0,1]
	v_pk_fma_f32 v[12:13], v[28:29], 0.5, v[12:13] op_sel_hi:[1,0,1] neg_lo:[1,0,0] neg_hi:[1,0,0]
	v_pk_mul_f32 v[16:17], v[16:17], s[4:5] op_sel_hi:[1,0]
	v_pk_add_f32 v[36:37], v[36:37], v[46:47]
	v_pk_add_f32 v[28:29], v[12:13], v[16:17] op_sel:[0,1] op_sel_hi:[1,0]
	v_pk_add_f32 v[12:13], v[12:13], v[16:17] op_sel:[0,1] op_sel_hi:[1,0] neg_lo:[0,1] neg_hi:[0,1]
	v_mov_b32_e32 v16, v28
	v_mov_b32_e32 v17, v13
	;; [unrolled: 1-line block ×3, first 2 shown]
	ds_write_b64 v56, v[16:17] offset:4032
	ds_write_b64 v56, v[12:13] offset:8064
	ds_write_b64 v19, v[36:37]
	v_pk_add_f32 v[12:13], v[44:45], v[46:47]
	v_pk_add_f32 v[34:35], v[6:7], v[20:21]
	v_pk_fma_f32 v[12:13], v[12:13], 0.5, v[14:15] op_sel_hi:[1,0,1] neg_lo:[1,0,0] neg_hi:[1,0,0]
	v_pk_add_f32 v[14:15], v[44:45], v[46:47] neg_lo:[0,1] neg_hi:[0,1]
	v_pk_add_f32 v[34:35], v[34:35], v[38:39]
	v_pk_mul_f32 v[14:15], v[14:15], s[4:5] op_sel_hi:[1,0]
	s_nop 0
	v_pk_add_f32 v[16:17], v[12:13], v[14:15] op_sel:[0,1] op_sel_hi:[1,0]
	v_pk_add_f32 v[12:13], v[12:13], v[14:15] op_sel:[0,1] op_sel_hi:[1,0] neg_lo:[0,1] neg_hi:[0,1]
	v_mov_b32_e32 v14, v16
	v_mov_b32_e32 v15, v13
	;; [unrolled: 1-line block ×3, first 2 shown]
	ds_write_b64 v19, v[14:15] offset:4032
	ds_write_b64 v19, v[12:13] offset:8064
	ds_write_b64 v57, v[34:35]
	v_pk_add_f32 v[12:13], v[20:21], v[38:39]
	s_nop 0
	v_pk_fma_f32 v[6:7], v[12:13], 0.5, v[6:7] op_sel_hi:[1,0,1] neg_lo:[1,0,0] neg_hi:[1,0,0]
	v_pk_add_f32 v[12:13], v[20:21], v[38:39] neg_lo:[0,1] neg_hi:[0,1]
	s_nop 0
	v_pk_mul_f32 v[12:13], v[12:13], s[4:5] op_sel_hi:[1,0]
	s_nop 0
	v_pk_add_f32 v[14:15], v[6:7], v[12:13] op_sel:[0,1] op_sel_hi:[1,0]
	v_pk_add_f32 v[6:7], v[6:7], v[12:13] op_sel:[0,1] op_sel_hi:[1,0] neg_lo:[0,1] neg_hi:[0,1]
	v_mov_b32_e32 v12, v14
	v_mov_b32_e32 v13, v7
	;; [unrolled: 1-line block ×3, first 2 shown]
	ds_write_b64 v57, v[12:13] offset:4032
	ds_write_b64 v57, v[6:7] offset:8064
	ds_write_b64 v23, v[24:25]
	v_pk_add_f32 v[6:7], v[26:27], v[48:49]
	s_nop 0
	v_pk_fma_f32 v[6:7], v[6:7], 0.5, v[8:9] op_sel_hi:[1,0,1] neg_lo:[1,0,0] neg_hi:[1,0,0]
	v_pk_add_f32 v[8:9], v[26:27], v[48:49] neg_lo:[0,1] neg_hi:[0,1]
	s_nop 0
	v_pk_mul_f32 v[8:9], v[8:9], s[4:5] op_sel_hi:[1,0]
	s_nop 0
	v_pk_add_f32 v[12:13], v[6:7], v[8:9] op_sel:[0,1] op_sel_hi:[1,0]
	v_pk_add_f32 v[6:7], v[6:7], v[8:9] op_sel:[0,1] op_sel_hi:[1,0] neg_lo:[0,1] neg_hi:[0,1]
	v_mov_b32_e32 v8, v12
	v_mov_b32_e32 v9, v7
	v_mov_b32_e32 v7, v13
	ds_write_b64 v23, v[8:9] offset:4032
	ds_write_b64 v23, v[6:7] offset:8064
	s_waitcnt lgkmcnt(0)
	s_barrier
	s_and_saveexec_b64 s[4:5], s[12:13]
	s_cbranch_execz .LBB0_46
; %bb.45:
	s_movk_i32 s4, 0xfc
	v_subrev_u32_e32 v6, 18, v51
	v_cmp_gt_u32_e32 vcc, s4, v0
	v_mov_b32_e32 v7, 0
	s_movk_i32 s4, 0x1f8
	v_cndmask_b32_e32 v6, v6, v50, vcc
	v_lshl_add_u64 v[8:9], v[6:7], 3, s[2:3]
	global_load_dwordx2 v[12:13], v[8:9], off offset:792
	v_subrev_u32_e32 v8, 36, v51
	v_cmp_gt_u32_e32 vcc, s4, v0
	v_mov_b32_e32 v9, v7
	s_load_dwordx2 s[0:1], s[0:1], 0x8
	v_cndmask_b32_e32 v8, v8, v3, vcc
	v_lshl_add_u64 v[14:15], v[8:9], 3, s[2:3]
	global_load_dwordx2 v[16:17], v[14:15], off offset:792
	v_add_u32_e32 v9, 0x6c, v6
	v_mov_b32_e32 v68, 3
	v_mul_lo_u32 v9, v4, v9
	v_lshlrev_b32_sdwa v14, v68, v9 dst_sel:DWORD dst_unused:UNUSED_PAD src0_sel:DWORD src1_sel:BYTE_0
	v_lshlrev_b32_sdwa v15, v68, v9 dst_sel:DWORD dst_unused:UNUSED_PAD src0_sel:DWORD src1_sel:BYTE_1
	s_waitcnt lgkmcnt(0)
	global_load_dwordx2 v[20:21], v14, s[0:1]
	global_load_dwordx2 v[28:29], v15, s[0:1] offset:2048
	v_mov_b32_e32 v69, 0x1000
	v_bfe_u32 v9, v9, 16, 8
	v_lshl_or_b32 v9, v9, 3, v69
	global_load_dwordx2 v[30:31], v9, s[0:1]
	v_mul_lo_u32 v9, v4, v6
	v_lshlrev_b32_sdwa v14, v68, v9 dst_sel:DWORD dst_unused:UNUSED_PAD src0_sel:DWORD src1_sel:BYTE_0
	v_lshlrev_b32_sdwa v15, v68, v9 dst_sel:DWORD dst_unused:UNUSED_PAD src0_sel:DWORD src1_sel:BYTE_1
	global_load_dwordx2 v[32:33], v14, s[0:1]
	global_load_dwordx2 v[34:35], v15, s[0:1] offset:2048
	v_bfe_u32 v9, v9, 16, 8
	v_lshl_or_b32 v9, v9, 3, v69
	global_load_dwordx2 v[36:37], v9, s[0:1]
	v_add_u32_e32 v9, 0x6c, v8
	v_mul_lo_u32 v9, v4, v9
	v_lshlrev_b32_sdwa v14, v68, v9 dst_sel:DWORD dst_unused:UNUSED_PAD src0_sel:DWORD src1_sel:BYTE_0
	v_lshlrev_b32_sdwa v15, v68, v9 dst_sel:DWORD dst_unused:UNUSED_PAD src0_sel:DWORD src1_sel:BYTE_1
	global_load_dwordx2 v[38:39], v14, s[0:1]
	global_load_dwordx2 v[40:41], v15, s[0:1] offset:2048
	v_bfe_u32 v9, v9, 16, 8
	v_lshl_or_b32 v9, v9, 3, v69
	global_load_dwordx2 v[42:43], v9, s[0:1]
	v_mul_lo_u32 v14, v4, v8
	v_lshlrev_b32_sdwa v15, v68, v14 dst_sel:DWORD dst_unused:UNUSED_PAD src0_sel:DWORD src1_sel:BYTE_0
	v_lshlrev_b32_sdwa v19, v68, v14 dst_sel:DWORD dst_unused:UNUSED_PAD src0_sel:DWORD src1_sel:BYTE_1
	global_load_dwordx2 v[44:45], v15, s[0:1]
	global_load_dwordx2 v[46:47], v19, s[0:1] offset:2048
	ds_read2_b64 v[24:27], v11 offset1:252
	v_bfe_u32 v11, v14, 16, 8
	v_lshl_or_b32 v11, v11, 3, v69
	global_load_dwordx2 v[48:49], v11, s[0:1]
	s_movk_i32 s4, 0x2f4
	v_subrev_u32_e32 v11, 54, v51
	v_cmp_gt_u32_e32 vcc, s4, v0
	v_mov_b32_e32 v15, v7
	v_mul_u32_u24_e32 v9, 0x70, v50
	v_cndmask_b32_e32 v14, v11, v54, vcc
	v_lshl_add_u64 v[56:57], v[14:15], 3, s[2:3]
	global_load_dwordx2 v[56:57], v[56:57], off offset:792
	v_add_u32_e32 v11, 0x6c, v14
	v_mul_lo_u32 v11, v4, v11
	v_bfe_u32 v15, v11, 16, 8
	v_lshl_or_b32 v15, v15, 3, v69
	v_add3_u32 v9, 0, v9, v10
	v_mul_lo_u32 v71, v4, v14
	v_lshlrev_b32_sdwa v19, v68, v71 dst_sel:DWORD dst_unused:UNUSED_PAD src0_sel:DWORD src1_sel:BYTE_1
	s_movk_i32 s4, 0x3f0
	v_add_u32_e32 v70, 0x7e0, v1
	v_cmp_gt_u32_e32 vcc, s4, v0
	v_add_u32_e32 v2, s11, v2
	s_waitcnt vmcnt(14) lgkmcnt(0)
	v_pk_mul_f32 v[58:59], v[26:27], v[12:13] op_sel:[0,1]
	s_nop 0
	v_pk_fma_f32 v[62:63], v[26:27], v[12:13], v[58:59] op_sel:[0,0,1] op_sel_hi:[1,1,0] neg_lo:[0,0,1] neg_hi:[0,0,1]
	v_pk_fma_f32 v[12:13], v[26:27], v[12:13], v[58:59] op_sel:[0,0,1] op_sel_hi:[1,0,0]
	s_waitcnt vmcnt(13)
	v_pk_mul_f32 v[60:61], v[16:17], v[24:25] op_sel:[0,1]
	s_nop 0
	v_pk_fma_f32 v[26:27], v[16:17], v[24:25], v[60:61] op_sel:[0,0,1] op_sel_hi:[1,1,0] neg_lo:[0,0,1] neg_hi:[0,0,1]
	v_pk_fma_f32 v[24:25], v[16:17], v[24:25], v[60:61] op_sel:[0,0,1] op_sel_hi:[1,0,0]
	v_lshlrev_b32_sdwa v12, v68, v11 dst_sel:DWORD dst_unused:UNUSED_PAD src0_sel:DWORD src1_sel:BYTE_0
	v_lshlrev_b32_sdwa v11, v68, v11 dst_sel:DWORD dst_unused:UNUSED_PAD src0_sel:DWORD src1_sel:BYTE_1
	global_load_dwordx2 v[58:59], v15, s[0:1]
	global_load_dwordx2 v[60:61], v12, s[0:1]
	global_load_dwordx2 v[64:65], v11, s[0:1] offset:2048
	ds_read_b64 v[16:17], v9
	s_waitcnt vmcnt(14)
	v_mul_f32_e32 v10, v20, v28
	v_fma_f32 v12, -v21, v29, v10
	v_pk_mul_f32 v[10:11], v[20:21], v[28:29] op_sel:[1,0] op_sel_hi:[0,1]
	v_mov_b32_e32 v63, v13
	v_add_f32_e32 v11, v10, v11
	s_waitcnt vmcnt(13)
	v_mul_f32_e32 v10, v12, v31
	s_waitcnt lgkmcnt(0)
	v_pk_add_f32 v[62:63], v[16:17], v[62:63] neg_lo:[0,1] neg_hi:[0,1]
	v_mul_f32_e32 v13, v11, v31
	v_fmac_f32_e32 v10, v30, v11
	v_fma_f32 v12, v30, v12, -v13
	v_pk_mul_f32 v[20:21], v[62:63], v[10:11] op_sel_hi:[1,0]
	ds_read_b32 v9, v9
	v_pk_fma_f32 v[10:11], v[62:63], v[12:13], v[20:21] op_sel:[0,0,1] op_sel_hi:[1,1,0] neg_lo:[0,0,1] neg_hi:[0,0,1]
	v_pk_fma_f32 v[12:13], v[62:63], v[12:13], v[20:21] op_sel:[0,0,1] op_sel_hi:[1,0,0]
	s_waitcnt vmcnt(11)
	v_mul_f32_e32 v11, v33, v35
	v_mul_f32_e32 v12, v32, v35
	v_fmac_f32_e32 v12, v33, v34
	v_lshlrev_b32_sdwa v16, v68, v71 dst_sel:DWORD dst_unused:UNUSED_PAD src0_sel:DWORD src1_sel:BYTE_0
	v_fma_f32 v11, v32, v34, -v11
	global_load_dwordx2 v[30:31], v16, s[0:1]
	global_load_dwordx2 v[66:67], v19, s[0:1] offset:2048
	v_fma_f32 v16, v17, 2.0, -v63
	s_waitcnt vmcnt(12)
	v_mul_f32_e32 v17, v12, v37
	v_fma_f32 v19, v36, v11, -v17
	v_mul_f32_e32 v11, v11, v37
	s_waitcnt lgkmcnt(0)
	v_fma_f32 v9, v9, 2.0, -v62
	v_fmac_f32_e32 v11, v36, v12
	ds_read_b64 v[28:29], v18
	v_mul_f32_e32 v17, v9, v11
	v_mul_f32_e32 v11, v16, v11
	v_add_u32_e32 v15, 0x17a0, v1
	v_fmac_f32_e32 v17, v16, v19
	v_fma_f32 v16, v9, v19, -v11
	ds_read_b32 v9, v18
	s_waitcnt vmcnt(10)
	v_mul_f32_e32 v11, v38, v40
	v_fma_f32 v11, -v39, v41, v11
	ds_read_b64 v[36:37], v15
	v_pk_mul_f32 v[18:19], v[38:39], v[40:41] op_sel:[1,0] op_sel_hi:[0,1]
	v_mov_b32_e32 v27, v25
	v_add_f32_e32 v19, v18, v19
	s_waitcnt vmcnt(9)
	v_mul_f32_e32 v18, v11, v43
	s_waitcnt lgkmcnt(2)
	v_pk_add_f32 v[24:25], v[28:29], v[26:27] neg_lo:[0,1] neg_hi:[0,1]
	v_mul_f32_e32 v12, v19, v43
	v_fmac_f32_e32 v18, v42, v19
	v_fma_f32 v12, v42, v11, -v12
	v_pk_mul_f32 v[20:21], v[24:25], v[18:19] op_sel_hi:[1,0]
	ds_read2_b64 v[32:35], v22 offset1:252
	v_pk_fma_f32 v[18:19], v[24:25], v[12:13], v[20:21] op_sel:[0,0,1] op_sel_hi:[1,1,0] neg_lo:[0,0,1] neg_hi:[0,0,1]
	v_pk_fma_f32 v[20:21], v[24:25], v[12:13], v[20:21] op_sel:[0,0,1] op_sel_hi:[1,0,0]
	s_waitcnt vmcnt(7)
	v_mul_f32_e32 v19, v44, v47
	v_mul_f32_e32 v12, v45, v47
	v_fmac_f32_e32 v19, v45, v46
	v_fma_f32 v12, v44, v46, -v12
	s_waitcnt vmcnt(6)
	v_mul_f32_e32 v20, v19, v49
	v_fma_f32 v20, v48, v12, -v20
	v_mul_f32_e32 v12, v12, v49
	s_waitcnt lgkmcnt(2)
	v_fma_f32 v9, v9, 2.0, -v24
	v_fmac_f32_e32 v12, v48, v19
	v_fma_f32 v11, v29, 2.0, -v25
	v_mul_f32_e32 v23, v9, v12
	v_fmac_f32_e32 v23, v11, v20
	v_mul_f32_e32 v11, v11, v12
	v_fma_f32 v22, v9, v20, -v11
	s_waitcnt vmcnt(5) lgkmcnt(0)
	v_pk_mul_f32 v[24:25], v[56:57], v[34:35] op_sel:[0,1]
	v_bfe_u32 v9, v71, 16, 8
	v_pk_fma_f32 v[26:27], v[56:57], v[34:35], v[24:25] op_sel:[0,0,1] op_sel_hi:[1,1,0] neg_lo:[0,0,1] neg_hi:[0,0,1]
	v_pk_fma_f32 v[24:25], v[56:57], v[34:35], v[24:25] op_sel:[0,0,1] op_sel_hi:[1,0,0]
	v_lshl_or_b32 v9, v9, 3, v69
	v_mov_b32_e32 v27, v25
	global_load_dwordx2 v[34:35], v9, s[0:1]
	ds_read_b32 v9, v15
	ds_read_b64 v[28:29], v70
	ds_read_b64 v[38:39], v1
	v_add_u32_e32 v1, 0xffffffb8, v51
	v_pk_add_f32 v[40:41], v[36:37], v[26:27] neg_lo:[0,1] neg_hi:[0,1]
	v_cndmask_b32_e32 v26, v1, v53, vcc
	v_mov_b32_e32 v27, v7
	v_lshl_add_u64 v[0:1], v[26:27], 3, s[2:3]
	global_load_dwordx2 v[42:43], v[0:1], off offset:792
	v_add_u32_e32 v0, 0x6c, v26
	v_mul_lo_u32 v0, v4, v0
	v_bfe_u32 v1, v0, 16, 8
	v_lshl_or_b32 v1, v1, 3, v69
	v_lshlrev_b32_sdwa v12, v68, v0 dst_sel:DWORD dst_unused:UNUSED_PAD src0_sel:DWORD src1_sel:BYTE_0
	v_lshlrev_b32_sdwa v0, v68, v0 dst_sel:DWORD dst_unused:UNUSED_PAD src0_sel:DWORD src1_sel:BYTE_1
	global_load_dwordx2 v[44:45], v1, s[0:1]
	global_load_dwordx2 v[46:47], v12, s[0:1]
	global_load_dwordx2 v[48:49], v0, s[0:1] offset:2048
	s_waitcnt vmcnt(7)
	v_pk_mul_f32 v[0:1], v[60:61], v[64:65] op_sel:[1,0] op_sel_hi:[0,1]
	v_mul_f32_e32 v11, v60, v64
	v_add_f32_e32 v1, v0, v1
	v_fma_f32 v11, -v61, v65, v11
	v_mul_f32_e32 v0, v1, v59
	v_fma_f32 v12, v58, v11, -v0
	v_mul_f32_e32 v0, v11, v59
	v_fmac_f32_e32 v0, v58, v1
	v_pk_mul_f32 v[24:25], v[40:41], v[0:1] op_sel_hi:[1,0]
	s_waitcnt lgkmcnt(2)
	v_fma_f32 v9, v9, 2.0, -v40
	v_pk_fma_f32 v[0:1], v[40:41], v[12:13], v[24:25] op_sel:[0,0,1] op_sel_hi:[1,1,0] neg_lo:[0,0,1] neg_hi:[0,0,1]
	v_pk_fma_f32 v[24:25], v[40:41], v[12:13], v[24:25] op_sel:[0,0,1] op_sel_hi:[1,0,0]
	v_mul_lo_u32 v12, v4, v26
	v_lshlrev_b32_sdwa v15, v68, v12 dst_sel:DWORD dst_unused:UNUSED_PAD src0_sel:DWORD src1_sel:BYTE_0
	v_lshlrev_b32_sdwa v19, v68, v12 dst_sel:DWORD dst_unused:UNUSED_PAD src0_sel:DWORD src1_sel:BYTE_1
	global_load_dwordx2 v[56:57], v15, s[0:1]
	global_load_dwordx2 v[58:59], v19, s[0:1] offset:2048
	s_waitcnt vmcnt(7)
	v_mul_f32_e32 v11, v30, v67
	v_mul_f32_e32 v1, v31, v67
	v_fmac_f32_e32 v11, v31, v66
	v_fma_f32 v1, v30, v66, -v1
	v_fma_f32 v15, v37, 2.0, -v41
	ds_read_b64 v[36:37], v5
	s_waitcnt vmcnt(6)
	v_mul_f32_e32 v19, v11, v35
	v_fma_f32 v19, v34, v1, -v19
	v_mul_f32_e32 v1, v1, v35
	v_fmac_f32_e32 v1, v34, v11
	v_mul_f32_e32 v31, v9, v1
	v_mul_f32_e32 v1, v15, v1
	v_fma_f32 v30, v9, v19, -v1
	ds_read_b32 v1, v5
	s_waitcnt vmcnt(5)
	v_pk_mul_f32 v[34:35], v[42:43], v[32:33] op_sel:[0,1]
	v_bfe_u32 v5, v12, 16, 8
	v_pk_fma_f32 v[40:41], v[42:43], v[32:33], v[34:35] op_sel:[0,0,1] op_sel_hi:[1,1,0] neg_lo:[0,0,1] neg_hi:[0,0,1]
	v_pk_fma_f32 v[32:33], v[42:43], v[32:33], v[34:35] op_sel:[0,0,1] op_sel_hi:[1,0,0]
	v_lshl_or_b32 v5, v5, 3, v69
	v_mov_b32_e32 v41, v33
	s_waitcnt vmcnt(2)
	v_pk_mul_f32 v[32:33], v[46:47], v[48:49] op_sel:[1,0] op_sel_hi:[0,1]
	global_load_dwordx2 v[60:61], v5, s[0:1]
	v_mul_f32_e32 v5, v46, v48
	v_add_f32_e32 v9, v32, v33
	v_fma_f32 v5, -v47, v49, v5
	v_mul_f32_e32 v11, v9, v45
	v_fma_f32 v12, v44, v5, -v11
	v_add_u32_e32 v11, 0x7e, v51
	v_mul_f32_e32 v20, v5, v45
	v_mul_lo_u32 v5, v4, v11
	v_fmac_f32_e32 v31, v15, v19
	s_waitcnt lgkmcnt(1)
	v_pk_add_f32 v[42:43], v[36:37], v[40:41] neg_lo:[0,1] neg_hi:[0,1]
	v_fmac_f32_e32 v20, v44, v9
	v_bfe_u32 v9, v5, 16, 8
	v_mul_lo_u32 v15, v4, v52
	v_pk_mul_f32 v[34:35], v[42:43], v[20:21] op_sel_hi:[1,0]
	v_lshl_or_b32 v9, v9, 3, v69
	v_lshlrev_b32_sdwa v19, v68, v15 dst_sel:DWORD dst_unused:UNUSED_PAD src0_sel:DWORD src1_sel:BYTE_0
	v_pk_fma_f32 v[32:33], v[42:43], v[12:13], v[34:35] op_sel:[0,0,1] op_sel_hi:[1,1,0] neg_lo:[0,0,1] neg_hi:[0,0,1]
	v_pk_fma_f32 v[34:35], v[42:43], v[12:13], v[34:35] op_sel:[0,0,1] op_sel_hi:[1,0,0]
	v_lshlrev_b32_sdwa v12, v68, v5 dst_sel:DWORD dst_unused:UNUSED_PAD src0_sel:DWORD src1_sel:BYTE_0
	global_load_dwordx2 v[40:41], v9, s[0:1]
	global_load_dwordx2 v[48:49], v12, s[0:1]
	v_lshlrev_b32_sdwa v20, v68, v15 dst_sel:DWORD dst_unused:UNUSED_PAD src0_sel:DWORD src1_sel:BYTE_1
	global_load_dwordx2 v[44:45], v19, s[0:1]
	global_load_dwordx2 v[46:47], v20, s[0:1] offset:2048
	v_bfe_u32 v15, v15, 16, 8
	s_waitcnt vmcnt(5)
	v_mul_f32_e32 v9, v57, v59
	v_mul_f32_e32 v12, v56, v59
	v_lshl_or_b32 v15, v15, 3, v69
	v_fma_f32 v9, v56, v58, -v9
	v_fmac_f32_e32 v12, v57, v58
	global_load_dwordx2 v[56:57], v15, s[0:1]
	v_lshlrev_b32_sdwa v5, v68, v5 dst_sel:DWORD dst_unused:UNUSED_PAD src0_sel:DWORD src1_sel:BYTE_1
	global_load_dwordx2 v[58:59], v5, s[0:1] offset:2048
	s_waitcnt lgkmcnt(0)
	v_fma_f32 v1, v1, 2.0, -v42
	v_fma_f32 v15, v37, 2.0, -v43
	v_mul_lo_u32 v19, v4, v51
	v_lshlrev_b32_sdwa v20, v68, v19 dst_sel:DWORD dst_unused:UNUSED_PAD src0_sel:DWORD src1_sel:BYTE_0
	v_lshlrev_b32_sdwa v24, v68, v19 dst_sel:DWORD dst_unused:UNUSED_PAD src0_sel:DWORD src1_sel:BYTE_1
	v_lshlrev_b32_e32 v33, 3, v51
	s_waitcnt vmcnt(6)
	v_mul_f32_e32 v5, v12, v61
	v_fma_f32 v5, v60, v9, -v5
	v_mul_f32_e32 v9, v9, v61
	v_fmac_f32_e32 v9, v60, v12
	v_mul_f32_e32 v37, v1, v9
	v_fmac_f32_e32 v37, v15, v5
	v_mul_f32_e32 v9, v15, v9
	v_fma_f32 v36, v1, v5, -v9
	global_load_dwordx2 v[60:61], v20, s[0:1]
	global_load_dwordx2 v[62:63], v24, s[0:1] offset:2048
	s_waitcnt vmcnt(4)
	v_mul_f32_e32 v12, v45, v47
	v_fma_f32 v12, v44, v46, -v12
	v_mul_f32_e32 v15, v44, v47
	v_fmac_f32_e32 v15, v45, v46
	s_waitcnt vmcnt(3)
	v_mul_f32_e32 v9, v12, v57
	v_mul_f32_e32 v1, v15, v57
	v_fmac_f32_e32 v9, v56, v15
	v_add_u32_e32 v15, 0x6c, v51
	v_mul_lo_u32 v4, v4, v15
	v_bfe_u32 v5, v4, 16, 8
	v_fma_f32 v1, v56, v12, -v1
	v_lshl_or_b32 v12, v5, 3, v69
	v_lshlrev_b32_sdwa v5, v68, v4 dst_sel:DWORD dst_unused:UNUSED_PAD src0_sel:DWORD src1_sel:BYTE_0
	v_lshlrev_b32_sdwa v4, v68, v4 dst_sel:DWORD dst_unused:UNUSED_PAD src0_sel:DWORD src1_sel:BYTE_1
	global_load_dwordx2 v[42:43], v5, s[0:1]
	global_load_dwordx2 v[44:45], v4, s[0:1] offset:2048
	v_bfe_u32 v4, v19, 16, 8
	v_lshl_or_b32 v19, v4, 3, v69
	global_load_dwordx2 v[46:47], v19, s[0:1]
	global_load_dwordx2 v[4:5], v12, s[0:1]
	global_load_dwordx2 v[56:57], v33, s[2:3] offset:792
	s_waitcnt vmcnt(7)
	v_mul_f32_e32 v12, v48, v58
	v_fma_f32 v19, -v49, v59, v12
	v_pk_mul_f32 v[48:49], v[48:49], v[58:59] op_sel:[1,0] op_sel_hi:[0,1]
	v_add_f32_e32 v20, v48, v49
	global_load_dwordx2 v[48:49], v33, s[2:3] offset:936
	s_waitcnt vmcnt(6)
	v_mul_f32_e32 v12, v61, v63
	v_fma_f32 v24, v60, v62, -v12
	v_mul_f32_e32 v12, v19, v41
	v_fmac_f32_e32 v12, v40, v20
	v_mul_f32_e32 v20, v20, v41
	v_fma_f32 v20, v40, v19, -v20
	v_mul_f32_e32 v27, v60, v63
	v_fmac_f32_e32 v27, v62, v61
	s_waitcnt vmcnt(4)
	v_mul_f32_e32 v19, v42, v44
	v_fma_f32 v19, -v43, v45, v19
	v_pk_mul_f32 v[44:45], v[42:43], v[44:45] op_sel:[1,0] op_sel_hi:[0,1]
	ds_read2_b64 v[40:43], v55 offset1:252
	s_waitcnt vmcnt(3)
	v_mul_f32_e32 v34, v47, v24
	v_mul_f32_e32 v33, v47, v27
	v_fmac_f32_e32 v34, v46, v27
	v_add_f32_e32 v27, v44, v45
	s_waitcnt vmcnt(1) lgkmcnt(0)
	v_pk_mul_f32 v[44:45], v[56:57], v[40:41] op_sel:[1,1] op_sel_hi:[0,1]
	v_fma_f32 v33, v46, v24, -v33
	v_pk_fma_f32 v[46:47], v[56:57], v[40:41], v[44:45] neg_lo:[0,0,1] neg_hi:[0,0,1]
	v_pk_fma_f32 v[40:41], v[56:57], v[40:41], v[44:45] op_sel_hi:[1,0,1]
	v_mul_f32_e32 v24, v19, v5
	v_mov_b32_e32 v47, v41
	v_fmac_f32_e32 v24, v4, v27
	v_mul_f32_e32 v5, v27, v5
	v_pk_add_f32 v[40:41], v[38:39], v[46:47] neg_lo:[0,1] neg_hi:[0,1]
	v_fma_f32 v4, v4, v19, -v5
	v_pk_mul_f32 v[44:45], v[40:41], v[24:25] op_sel_hi:[1,0]
	v_fma_f32 v19, v38, 2.0, -v40
	v_pk_fma_f32 v[46:47], v[40:41], v[4:5], v[44:45] op_sel:[0,0,1] op_sel_hi:[1,1,0] neg_lo:[0,0,1] neg_hi:[0,0,1]
	v_pk_fma_f32 v[4:5], v[40:41], v[4:5], v[44:45] op_sel:[0,0,1] op_sel_hi:[1,0,0]
	v_mad_u64_u32 v[44:45], s[0:1], s10, v51, v[2:3]
	v_fma_f32 v4, v39, 2.0, -v41
	v_mul_f32_e32 v41, v19, v34
	v_mov_b32_e32 v45, v7
	v_fmac_f32_e32 v41, v4, v33
	v_mul_f32_e32 v4, v4, v34
	v_lshl_add_u64 v[44:45], v[44:45], 3, s[8:9]
	v_fma_f32 v40, v19, v33, -v4
	global_store_dwordx2 v[44:45], v[40:41], off
	s_waitcnt vmcnt(1)
	v_pk_mul_f32 v[44:45], v[48:49], v[42:43] op_sel:[1,1] op_sel_hi:[0,1]
	v_mad_u64_u32 v[38:39], s[0:1], s10, v15, v[2:3]
	v_pk_fma_f32 v[40:41], v[48:49], v[42:43], v[44:45] neg_lo:[0,0,1] neg_hi:[0,0,1]
	v_pk_fma_f32 v[42:43], v[48:49], v[42:43], v[44:45] op_sel_hi:[1,0,1]
	v_mov_b32_e32 v39, v7
	v_mov_b32_e32 v41, v43
	v_lshl_add_u64 v[38:39], v[38:39], 3, s[8:9]
	v_mov_b32_e32 v47, v5
	v_pk_add_f32 v[40:41], v[28:29], v[40:41] neg_lo:[0,1] neg_hi:[0,1]
	global_store_dwordx2 v[38:39], v[46:47], off
	v_mad_u64_u32 v[38:39], s[0:1], s10, v11, v[2:3]
	v_pk_mul_f32 v[42:43], v[40:41], v[12:13] op_sel_hi:[1,0]
	v_fma_f32 v11, v29, 2.0, -v41
	v_fma_f32 v12, v28, 2.0, -v40
	v_mad_u64_u32 v[4:5], s[0:1], s10, v52, v[2:3]
	v_mul_f32_e32 v29, v12, v9
	v_mul_f32_e32 v9, v11, v9
	v_mov_b32_e32 v5, v7
	v_fmac_f32_e32 v29, v11, v1
	v_fma_f32 v28, v12, v1, -v9
	v_sub_u32_e32 v1, v53, v26
	v_lshl_add_u64 v[4:5], v[4:5], 3, s[8:9]
	v_add_u32_e32 v1, v1, v53
	global_store_dwordx2 v[4:5], v[28:29], off
	v_mad_u64_u32 v[4:5], s[0:1], s10, v1, v[2:3]
	v_mov_b32_e32 v39, v7
	v_pk_fma_f32 v[44:45], v[40:41], v[20:21], v[42:43] op_sel:[0,0,1] op_sel_hi:[1,1,0] neg_lo:[0,0,1] neg_hi:[0,0,1]
	v_pk_fma_f32 v[42:43], v[40:41], v[20:21], v[42:43] op_sel:[0,0,1] op_sel_hi:[1,0,0]
	v_mov_b32_e32 v5, v7
	v_lshl_add_u64 v[38:39], v[38:39], 3, s[8:9]
	v_mov_b32_e32 v45, v43
	v_lshl_add_u64 v[4:5], v[4:5], 3, s[8:9]
	v_add_u32_e32 v1, 0x6c, v1
	global_store_dwordx2 v[38:39], v[44:45], off
	global_store_dwordx2 v[4:5], v[36:37], off
	v_mad_u64_u32 v[4:5], s[0:1], s10, v1, v[2:3]
	v_mov_b32_e32 v5, v7
	v_sub_u32_e32 v1, v54, v14
	v_lshl_add_u64 v[4:5], v[4:5], 3, s[8:9]
	v_mov_b32_e32 v33, v35
	v_add_u32_e32 v1, v1, v54
	global_store_dwordx2 v[4:5], v[32:33], off
	v_mad_u64_u32 v[4:5], s[0:1], s10, v1, v[2:3]
	v_mov_b32_e32 v5, v7
	v_lshl_add_u64 v[4:5], v[4:5], 3, s[8:9]
	v_add_u32_e32 v1, 0x6c, v1
	global_store_dwordx2 v[4:5], v[30:31], off
	v_mad_u64_u32 v[4:5], s[0:1], s10, v1, v[2:3]
	v_mov_b32_e32 v5, v7
	v_lshl_add_u64 v[4:5], v[4:5], 3, s[8:9]
	v_mov_b32_e32 v1, v25
	global_store_dwordx2 v[4:5], v[0:1], off
	v_sub_u32_e32 v0, v3, v8
	v_add_u32_e32 v3, v0, v3
	v_mad_u64_u32 v[0:1], s[0:1], s10, v3, v[2:3]
	v_mov_b32_e32 v1, v7
	v_lshl_add_u64 v[0:1], v[0:1], 3, s[8:9]
	global_store_dwordx2 v[0:1], v[22:23], off
	v_add_u32_e32 v0, 0x6c, v3
	v_mad_u64_u32 v[0:1], s[0:1], s10, v0, v[2:3]
	v_mov_b32_e32 v1, v7
	v_lshl_add_u64 v[0:1], v[0:1], 3, s[8:9]
	v_mov_b32_e32 v19, v21
	global_store_dwordx2 v[0:1], v[18:19], off
	v_sub_u32_e32 v0, v50, v6
	v_add_u32_e32 v3, v0, v50
	v_mad_u64_u32 v[0:1], s[0:1], s10, v3, v[2:3]
	v_mov_b32_e32 v1, v7
	v_lshl_add_u64 v[0:1], v[0:1], 3, s[8:9]
	global_store_dwordx2 v[0:1], v[16:17], off
	v_add_u32_e32 v0, 0x6c, v3
	v_mad_u64_u32 v[0:1], s[0:1], s10, v0, v[2:3]
	v_mov_b32_e32 v1, v7
	v_lshl_add_u64 v[0:1], v[0:1], 3, s[8:9]
	v_mov_b32_e32 v11, v13
	global_store_dwordx2 v[0:1], v[10:11], off
.LBB0_46:
	s_endpgm
	.section	.rodata,"a",@progbits
	.p2align	6, 0x0
	.amdhsa_kernel fft_rtc_fwd_len216_factors_9_4_3_2_wgs_252_tpt_18_dim3_sp_ip_CI_sbcc_twdbase8_3step_dirReg_intrinsicReadWrite
		.amdhsa_group_segment_fixed_size 0
		.amdhsa_private_segment_fixed_size 0
		.amdhsa_kernarg_size 88
		.amdhsa_user_sgpr_count 2
		.amdhsa_user_sgpr_dispatch_ptr 0
		.amdhsa_user_sgpr_queue_ptr 0
		.amdhsa_user_sgpr_kernarg_segment_ptr 1
		.amdhsa_user_sgpr_dispatch_id 0
		.amdhsa_user_sgpr_kernarg_preload_length 0
		.amdhsa_user_sgpr_kernarg_preload_offset 0
		.amdhsa_user_sgpr_private_segment_size 0
		.amdhsa_uses_dynamic_stack 0
		.amdhsa_enable_private_segment 0
		.amdhsa_system_sgpr_workgroup_id_x 1
		.amdhsa_system_sgpr_workgroup_id_y 0
		.amdhsa_system_sgpr_workgroup_id_z 0
		.amdhsa_system_sgpr_workgroup_info 0
		.amdhsa_system_vgpr_workitem_id 0
		.amdhsa_next_free_vgpr 72
		.amdhsa_next_free_sgpr 28
		.amdhsa_accum_offset 72
		.amdhsa_reserve_vcc 1
		.amdhsa_float_round_mode_32 0
		.amdhsa_float_round_mode_16_64 0
		.amdhsa_float_denorm_mode_32 3
		.amdhsa_float_denorm_mode_16_64 3
		.amdhsa_dx10_clamp 1
		.amdhsa_ieee_mode 1
		.amdhsa_fp16_overflow 0
		.amdhsa_tg_split 0
		.amdhsa_exception_fp_ieee_invalid_op 0
		.amdhsa_exception_fp_denorm_src 0
		.amdhsa_exception_fp_ieee_div_zero 0
		.amdhsa_exception_fp_ieee_overflow 0
		.amdhsa_exception_fp_ieee_underflow 0
		.amdhsa_exception_fp_ieee_inexact 0
		.amdhsa_exception_int_div_zero 0
	.end_amdhsa_kernel
	.text
.Lfunc_end0:
	.size	fft_rtc_fwd_len216_factors_9_4_3_2_wgs_252_tpt_18_dim3_sp_ip_CI_sbcc_twdbase8_3step_dirReg_intrinsicReadWrite, .Lfunc_end0-fft_rtc_fwd_len216_factors_9_4_3_2_wgs_252_tpt_18_dim3_sp_ip_CI_sbcc_twdbase8_3step_dirReg_intrinsicReadWrite
                                        ; -- End function
	.section	.AMDGPU.csdata,"",@progbits
; Kernel info:
; codeLenInByte = 8212
; NumSgprs: 34
; NumVgprs: 72
; NumAgprs: 0
; TotalNumVgprs: 72
; ScratchSize: 0
; MemoryBound: 0
; FloatMode: 240
; IeeeMode: 1
; LDSByteSize: 0 bytes/workgroup (compile time only)
; SGPRBlocks: 4
; VGPRBlocks: 8
; NumSGPRsForWavesPerEU: 34
; NumVGPRsForWavesPerEU: 72
; AccumOffset: 72
; Occupancy: 7
; WaveLimiterHint : 1
; COMPUTE_PGM_RSRC2:SCRATCH_EN: 0
; COMPUTE_PGM_RSRC2:USER_SGPR: 2
; COMPUTE_PGM_RSRC2:TRAP_HANDLER: 0
; COMPUTE_PGM_RSRC2:TGID_X_EN: 1
; COMPUTE_PGM_RSRC2:TGID_Y_EN: 0
; COMPUTE_PGM_RSRC2:TGID_Z_EN: 0
; COMPUTE_PGM_RSRC2:TIDIG_COMP_CNT: 0
; COMPUTE_PGM_RSRC3_GFX90A:ACCUM_OFFSET: 17
; COMPUTE_PGM_RSRC3_GFX90A:TG_SPLIT: 0
	.text
	.p2alignl 6, 3212836864
	.fill 256, 4, 3212836864
	.type	__hip_cuid_51434cbc17311e52,@object ; @__hip_cuid_51434cbc17311e52
	.section	.bss,"aw",@nobits
	.globl	__hip_cuid_51434cbc17311e52
__hip_cuid_51434cbc17311e52:
	.byte	0                               ; 0x0
	.size	__hip_cuid_51434cbc17311e52, 1

	.ident	"AMD clang version 19.0.0git (https://github.com/RadeonOpenCompute/llvm-project roc-6.4.0 25133 c7fe45cf4b819c5991fe208aaa96edf142730f1d)"
	.section	".note.GNU-stack","",@progbits
	.addrsig
	.addrsig_sym __hip_cuid_51434cbc17311e52
	.amdgpu_metadata
---
amdhsa.kernels:
  - .agpr_count:     0
    .args:
      - .actual_access:  read_only
        .address_space:  global
        .offset:         0
        .size:           8
        .value_kind:     global_buffer
      - .address_space:  global
        .offset:         8
        .size:           8
        .value_kind:     global_buffer
      - .actual_access:  read_only
        .address_space:  global
        .offset:         16
        .size:           8
        .value_kind:     global_buffer
      - .actual_access:  read_only
        .address_space:  global
        .offset:         24
        .size:           8
        .value_kind:     global_buffer
      - .offset:         32
        .size:           8
        .value_kind:     by_value
      - .actual_access:  read_only
        .address_space:  global
        .offset:         40
        .size:           8
        .value_kind:     global_buffer
      - .actual_access:  read_only
        .address_space:  global
        .offset:         48
        .size:           8
        .value_kind:     global_buffer
      - .offset:         56
        .size:           4
        .value_kind:     by_value
      - .actual_access:  read_only
        .address_space:  global
        .offset:         64
        .size:           8
        .value_kind:     global_buffer
      - .actual_access:  read_only
        .address_space:  global
        .offset:         72
        .size:           8
        .value_kind:     global_buffer
      - .address_space:  global
        .offset:         80
        .size:           8
        .value_kind:     global_buffer
    .group_segment_fixed_size: 0
    .kernarg_segment_align: 8
    .kernarg_segment_size: 88
    .language:       OpenCL C
    .language_version:
      - 2
      - 0
    .max_flat_workgroup_size: 252
    .name:           fft_rtc_fwd_len216_factors_9_4_3_2_wgs_252_tpt_18_dim3_sp_ip_CI_sbcc_twdbase8_3step_dirReg_intrinsicReadWrite
    .private_segment_fixed_size: 0
    .sgpr_count:     34
    .sgpr_spill_count: 0
    .symbol:         fft_rtc_fwd_len216_factors_9_4_3_2_wgs_252_tpt_18_dim3_sp_ip_CI_sbcc_twdbase8_3step_dirReg_intrinsicReadWrite.kd
    .uniform_work_group_size: 1
    .uses_dynamic_stack: false
    .vgpr_count:     72
    .vgpr_spill_count: 0
    .wavefront_size: 64
amdhsa.target:   amdgcn-amd-amdhsa--gfx950
amdhsa.version:
  - 1
  - 2
...

	.end_amdgpu_metadata
